;; amdgpu-corpus repo=ParRes/Kernels kind=compiled arch=gfx906 opt=O3
	.text
	.amdgcn_target "amdgcn-amd-amdhsa--gfx906"
	.amdhsa_code_object_version 6
	.section	.text._ZN6thrust11hip_rocprim14__parallel_for6kernelILj256ENS0_20__uninitialized_fill7functorINS_10device_ptrIdEEdEEmLj1EEEvT0_T1_S9_,"axG",@progbits,_ZN6thrust11hip_rocprim14__parallel_for6kernelILj256ENS0_20__uninitialized_fill7functorINS_10device_ptrIdEEdEEmLj1EEEvT0_T1_S9_,comdat
	.protected	_ZN6thrust11hip_rocprim14__parallel_for6kernelILj256ENS0_20__uninitialized_fill7functorINS_10device_ptrIdEEdEEmLj1EEEvT0_T1_S9_ ; -- Begin function _ZN6thrust11hip_rocprim14__parallel_for6kernelILj256ENS0_20__uninitialized_fill7functorINS_10device_ptrIdEEdEEmLj1EEEvT0_T1_S9_
	.globl	_ZN6thrust11hip_rocprim14__parallel_for6kernelILj256ENS0_20__uninitialized_fill7functorINS_10device_ptrIdEEdEEmLj1EEEvT0_T1_S9_
	.p2align	8
	.type	_ZN6thrust11hip_rocprim14__parallel_for6kernelILj256ENS0_20__uninitialized_fill7functorINS_10device_ptrIdEEdEEmLj1EEEvT0_T1_S9_,@function
_ZN6thrust11hip_rocprim14__parallel_for6kernelILj256ENS0_20__uninitialized_fill7functorINS_10device_ptrIdEEdEEmLj1EEEvT0_T1_S9_: ; @_ZN6thrust11hip_rocprim14__parallel_for6kernelILj256ENS0_20__uninitialized_fill7functorINS_10device_ptrIdEEdEEmLj1EEEvT0_T1_S9_
; %bb.0:
	s_load_dwordx8 s[8:15], s[4:5], 0x0
	s_lshl_b32 s0, s6, 8
	v_mov_b32_e32 v1, 0x100
	v_mov_b32_e32 v2, 0
	s_waitcnt lgkmcnt(0)
	s_add_u32 s0, s0, s14
	s_addc_u32 s1, 0, s15
	s_sub_u32 s2, s12, s0
	s_subb_u32 s3, s13, s1
	v_cmp_lt_u64_e32 vcc, s[2:3], v[1:2]
	s_cbranch_vccz .LBB0_2
; %bb.1:
	v_cmp_gt_u32_e32 vcc, s2, v0
	s_and_b64 s[2:3], vcc, exec
	s_cbranch_execz .LBB0_3
	s_branch .LBB0_4
.LBB0_2:
	s_mov_b64 s[2:3], 0
.LBB0_3:
	s_or_b64 s[2:3], s[2:3], exec
.LBB0_4:
	s_and_saveexec_b64 s[4:5], s[2:3]
	s_cbranch_execnz .LBB0_6
; %bb.5:
	s_endpgm
.LBB0_6:
	v_mov_b32_e32 v1, 0
	s_lshl_b64 s[0:1], s[0:1], 3
	s_add_u32 s0, s8, s0
	v_lshlrev_b64 v[0:1], 3, v[0:1]
	s_addc_u32 s1, s9, s1
	v_mov_b32_e32 v4, s1
	v_add_co_u32_e32 v0, vcc, s0, v0
	v_mov_b32_e32 v2, s10
	v_mov_b32_e32 v3, s11
	v_addc_co_u32_e32 v1, vcc, v4, v1, vcc
	flat_store_dwordx2 v[0:1], v[2:3]
	s_endpgm
	.section	.rodata,"a",@progbits
	.p2align	6, 0x0
	.amdhsa_kernel _ZN6thrust11hip_rocprim14__parallel_for6kernelILj256ENS0_20__uninitialized_fill7functorINS_10device_ptrIdEEdEEmLj1EEEvT0_T1_S9_
		.amdhsa_group_segment_fixed_size 0
		.amdhsa_private_segment_fixed_size 0
		.amdhsa_kernarg_size 32
		.amdhsa_user_sgpr_count 6
		.amdhsa_user_sgpr_private_segment_buffer 1
		.amdhsa_user_sgpr_dispatch_ptr 0
		.amdhsa_user_sgpr_queue_ptr 0
		.amdhsa_user_sgpr_kernarg_segment_ptr 1
		.amdhsa_user_sgpr_dispatch_id 0
		.amdhsa_user_sgpr_flat_scratch_init 0
		.amdhsa_user_sgpr_private_segment_size 0
		.amdhsa_uses_dynamic_stack 0
		.amdhsa_system_sgpr_private_segment_wavefront_offset 0
		.amdhsa_system_sgpr_workgroup_id_x 1
		.amdhsa_system_sgpr_workgroup_id_y 0
		.amdhsa_system_sgpr_workgroup_id_z 0
		.amdhsa_system_sgpr_workgroup_info 0
		.amdhsa_system_vgpr_workitem_id 0
		.amdhsa_next_free_vgpr 5
		.amdhsa_next_free_sgpr 16
		.amdhsa_reserve_vcc 1
		.amdhsa_reserve_flat_scratch 0
		.amdhsa_float_round_mode_32 0
		.amdhsa_float_round_mode_16_64 0
		.amdhsa_float_denorm_mode_32 3
		.amdhsa_float_denorm_mode_16_64 3
		.amdhsa_dx10_clamp 1
		.amdhsa_ieee_mode 1
		.amdhsa_fp16_overflow 0
		.amdhsa_exception_fp_ieee_invalid_op 0
		.amdhsa_exception_fp_denorm_src 0
		.amdhsa_exception_fp_ieee_div_zero 0
		.amdhsa_exception_fp_ieee_overflow 0
		.amdhsa_exception_fp_ieee_underflow 0
		.amdhsa_exception_fp_ieee_inexact 0
		.amdhsa_exception_int_div_zero 0
	.end_amdhsa_kernel
	.section	.text._ZN6thrust11hip_rocprim14__parallel_for6kernelILj256ENS0_20__uninitialized_fill7functorINS_10device_ptrIdEEdEEmLj1EEEvT0_T1_S9_,"axG",@progbits,_ZN6thrust11hip_rocprim14__parallel_for6kernelILj256ENS0_20__uninitialized_fill7functorINS_10device_ptrIdEEdEEmLj1EEEvT0_T1_S9_,comdat
.Lfunc_end0:
	.size	_ZN6thrust11hip_rocprim14__parallel_for6kernelILj256ENS0_20__uninitialized_fill7functorINS_10device_ptrIdEEdEEmLj1EEEvT0_T1_S9_, .Lfunc_end0-_ZN6thrust11hip_rocprim14__parallel_for6kernelILj256ENS0_20__uninitialized_fill7functorINS_10device_ptrIdEEdEEmLj1EEEvT0_T1_S9_
                                        ; -- End function
	.section	.AMDGPU.csdata,"",@progbits
; Kernel info:
; codeLenInByte = 144
; NumSgprs: 20
; NumVgprs: 5
; ScratchSize: 0
; MemoryBound: 0
; FloatMode: 240
; IeeeMode: 1
; LDSByteSize: 0 bytes/workgroup (compile time only)
; SGPRBlocks: 2
; VGPRBlocks: 1
; NumSGPRsForWavesPerEU: 20
; NumVGPRsForWavesPerEU: 5
; Occupancy: 10
; WaveLimiterHint : 0
; COMPUTE_PGM_RSRC2:SCRATCH_EN: 0
; COMPUTE_PGM_RSRC2:USER_SGPR: 6
; COMPUTE_PGM_RSRC2:TRAP_HANDLER: 0
; COMPUTE_PGM_RSRC2:TGID_X_EN: 1
; COMPUTE_PGM_RSRC2:TGID_Y_EN: 0
; COMPUTE_PGM_RSRC2:TGID_Z_EN: 0
; COMPUTE_PGM_RSRC2:TIDIG_COMP_CNT: 0
	.section	.text._ZN6thrust11hip_rocprim14__parallel_for6kernelILj256ENS0_11__transform17unary_transform_fINS_17counting_iteratorIlNS_11use_defaultES6_S6_EENS_6detail15normal_iteratorINS_10device_ptrIdEEEENS3_14no_stencil_tagEZNS0_6fill_nINS0_5par_tESC_ldEET0_RNS0_16execution_policyIT_EESG_T1_RKT2_EUllE_NS3_21always_true_predicateEEElLj1EEEvSG_SL_SL_,"axG",@progbits,_ZN6thrust11hip_rocprim14__parallel_for6kernelILj256ENS0_11__transform17unary_transform_fINS_17counting_iteratorIlNS_11use_defaultES6_S6_EENS_6detail15normal_iteratorINS_10device_ptrIdEEEENS3_14no_stencil_tagEZNS0_6fill_nINS0_5par_tESC_ldEET0_RNS0_16execution_policyIT_EESG_T1_RKT2_EUllE_NS3_21always_true_predicateEEElLj1EEEvSG_SL_SL_,comdat
	.protected	_ZN6thrust11hip_rocprim14__parallel_for6kernelILj256ENS0_11__transform17unary_transform_fINS_17counting_iteratorIlNS_11use_defaultES6_S6_EENS_6detail15normal_iteratorINS_10device_ptrIdEEEENS3_14no_stencil_tagEZNS0_6fill_nINS0_5par_tESC_ldEET0_RNS0_16execution_policyIT_EESG_T1_RKT2_EUllE_NS3_21always_true_predicateEEElLj1EEEvSG_SL_SL_ ; -- Begin function _ZN6thrust11hip_rocprim14__parallel_for6kernelILj256ENS0_11__transform17unary_transform_fINS_17counting_iteratorIlNS_11use_defaultES6_S6_EENS_6detail15normal_iteratorINS_10device_ptrIdEEEENS3_14no_stencil_tagEZNS0_6fill_nINS0_5par_tESC_ldEET0_RNS0_16execution_policyIT_EESG_T1_RKT2_EUllE_NS3_21always_true_predicateEEElLj1EEEvSG_SL_SL_
	.globl	_ZN6thrust11hip_rocprim14__parallel_for6kernelILj256ENS0_11__transform17unary_transform_fINS_17counting_iteratorIlNS_11use_defaultES6_S6_EENS_6detail15normal_iteratorINS_10device_ptrIdEEEENS3_14no_stencil_tagEZNS0_6fill_nINS0_5par_tESC_ldEET0_RNS0_16execution_policyIT_EESG_T1_RKT2_EUllE_NS3_21always_true_predicateEEElLj1EEEvSG_SL_SL_
	.p2align	8
	.type	_ZN6thrust11hip_rocprim14__parallel_for6kernelILj256ENS0_11__transform17unary_transform_fINS_17counting_iteratorIlNS_11use_defaultES6_S6_EENS_6detail15normal_iteratorINS_10device_ptrIdEEEENS3_14no_stencil_tagEZNS0_6fill_nINS0_5par_tESC_ldEET0_RNS0_16execution_policyIT_EESG_T1_RKT2_EUllE_NS3_21always_true_predicateEEElLj1EEEvSG_SL_SL_,@function
_ZN6thrust11hip_rocprim14__parallel_for6kernelILj256ENS0_11__transform17unary_transform_fINS_17counting_iteratorIlNS_11use_defaultES6_S6_EENS_6detail15normal_iteratorINS_10device_ptrIdEEEENS3_14no_stencil_tagEZNS0_6fill_nINS0_5par_tESC_ldEET0_RNS0_16execution_policyIT_EESG_T1_RKT2_EUllE_NS3_21always_true_predicateEEElLj1EEEvSG_SL_SL_: ; @_ZN6thrust11hip_rocprim14__parallel_for6kernelILj256ENS0_11__transform17unary_transform_fINS_17counting_iteratorIlNS_11use_defaultES6_S6_EENS_6detail15normal_iteratorINS_10device_ptrIdEEEENS3_14no_stencil_tagEZNS0_6fill_nINS0_5par_tESC_ldEET0_RNS0_16execution_policyIT_EESG_T1_RKT2_EUllE_NS3_21always_true_predicateEEElLj1EEEvSG_SL_SL_
; %bb.0:
	s_load_dwordx4 s[8:11], s[4:5], 0x20
	s_lshl_b32 s0, s6, 8
	v_mov_b32_e32 v1, 0x100
	v_mov_b32_e32 v2, 0
	s_waitcnt lgkmcnt(0)
	s_add_u32 s0, s0, s10
	s_addc_u32 s1, 0, s11
	s_sub_u32 s2, s8, s0
	s_subb_u32 s3, s9, s1
	v_cmp_lt_i64_e32 vcc, s[2:3], v[1:2]
	s_and_b64 s[6:7], vcc, exec
	s_cselect_b32 s6, s2, 0x100
	s_cmpk_eq_i32 s6, 0x100
	s_cselect_b64 s[2:3], -1, 0
	v_cmp_gt_u32_e32 vcc, s6, v0
	s_or_b64 s[2:3], s[2:3], vcc
	s_and_saveexec_b64 s[6:7], s[2:3]
	s_cbranch_execz .LBB1_2
; %bb.1:
	s_load_dwordx4 s[4:7], s[4:5], 0x8
	s_lshl_b64 s[0:1], s[0:1], 3
	v_lshlrev_b32_e32 v2, 3, v0
	s_waitcnt lgkmcnt(0)
	s_add_u32 s0, s4, s0
	s_addc_u32 s1, s5, s1
	v_mov_b32_e32 v3, s1
	v_add_co_u32_e32 v2, vcc, s0, v2
	v_mov_b32_e32 v0, s6
	v_mov_b32_e32 v1, s7
	v_addc_co_u32_e32 v3, vcc, 0, v3, vcc
	flat_store_dwordx2 v[2:3], v[0:1]
.LBB1_2:
	s_endpgm
	.section	.rodata,"a",@progbits
	.p2align	6, 0x0
	.amdhsa_kernel _ZN6thrust11hip_rocprim14__parallel_for6kernelILj256ENS0_11__transform17unary_transform_fINS_17counting_iteratorIlNS_11use_defaultES6_S6_EENS_6detail15normal_iteratorINS_10device_ptrIdEEEENS3_14no_stencil_tagEZNS0_6fill_nINS0_5par_tESC_ldEET0_RNS0_16execution_policyIT_EESG_T1_RKT2_EUllE_NS3_21always_true_predicateEEElLj1EEEvSG_SL_SL_
		.amdhsa_group_segment_fixed_size 0
		.amdhsa_private_segment_fixed_size 0
		.amdhsa_kernarg_size 48
		.amdhsa_user_sgpr_count 6
		.amdhsa_user_sgpr_private_segment_buffer 1
		.amdhsa_user_sgpr_dispatch_ptr 0
		.amdhsa_user_sgpr_queue_ptr 0
		.amdhsa_user_sgpr_kernarg_segment_ptr 1
		.amdhsa_user_sgpr_dispatch_id 0
		.amdhsa_user_sgpr_flat_scratch_init 0
		.amdhsa_user_sgpr_private_segment_size 0
		.amdhsa_uses_dynamic_stack 0
		.amdhsa_system_sgpr_private_segment_wavefront_offset 0
		.amdhsa_system_sgpr_workgroup_id_x 1
		.amdhsa_system_sgpr_workgroup_id_y 0
		.amdhsa_system_sgpr_workgroup_id_z 0
		.amdhsa_system_sgpr_workgroup_info 0
		.amdhsa_system_vgpr_workitem_id 0
		.amdhsa_next_free_vgpr 4
		.amdhsa_next_free_sgpr 12
		.amdhsa_reserve_vcc 1
		.amdhsa_reserve_flat_scratch 0
		.amdhsa_float_round_mode_32 0
		.amdhsa_float_round_mode_16_64 0
		.amdhsa_float_denorm_mode_32 3
		.amdhsa_float_denorm_mode_16_64 3
		.amdhsa_dx10_clamp 1
		.amdhsa_ieee_mode 1
		.amdhsa_fp16_overflow 0
		.amdhsa_exception_fp_ieee_invalid_op 0
		.amdhsa_exception_fp_denorm_src 0
		.amdhsa_exception_fp_ieee_div_zero 0
		.amdhsa_exception_fp_ieee_overflow 0
		.amdhsa_exception_fp_ieee_underflow 0
		.amdhsa_exception_fp_ieee_inexact 0
		.amdhsa_exception_int_div_zero 0
	.end_amdhsa_kernel
	.section	.text._ZN6thrust11hip_rocprim14__parallel_for6kernelILj256ENS0_11__transform17unary_transform_fINS_17counting_iteratorIlNS_11use_defaultES6_S6_EENS_6detail15normal_iteratorINS_10device_ptrIdEEEENS3_14no_stencil_tagEZNS0_6fill_nINS0_5par_tESC_ldEET0_RNS0_16execution_policyIT_EESG_T1_RKT2_EUllE_NS3_21always_true_predicateEEElLj1EEEvSG_SL_SL_,"axG",@progbits,_ZN6thrust11hip_rocprim14__parallel_for6kernelILj256ENS0_11__transform17unary_transform_fINS_17counting_iteratorIlNS_11use_defaultES6_S6_EENS_6detail15normal_iteratorINS_10device_ptrIdEEEENS3_14no_stencil_tagEZNS0_6fill_nINS0_5par_tESC_ldEET0_RNS0_16execution_policyIT_EESG_T1_RKT2_EUllE_NS3_21always_true_predicateEEElLj1EEEvSG_SL_SL_,comdat
.Lfunc_end1:
	.size	_ZN6thrust11hip_rocprim14__parallel_for6kernelILj256ENS0_11__transform17unary_transform_fINS_17counting_iteratorIlNS_11use_defaultES6_S6_EENS_6detail15normal_iteratorINS_10device_ptrIdEEEENS3_14no_stencil_tagEZNS0_6fill_nINS0_5par_tESC_ldEET0_RNS0_16execution_policyIT_EESG_T1_RKT2_EUllE_NS3_21always_true_predicateEEElLj1EEEvSG_SL_SL_, .Lfunc_end1-_ZN6thrust11hip_rocprim14__parallel_for6kernelILj256ENS0_11__transform17unary_transform_fINS_17counting_iteratorIlNS_11use_defaultES6_S6_EENS_6detail15normal_iteratorINS_10device_ptrIdEEEENS3_14no_stencil_tagEZNS0_6fill_nINS0_5par_tESC_ldEET0_RNS0_16execution_policyIT_EESG_T1_RKT2_EUllE_NS3_21always_true_predicateEEElLj1EEEvSG_SL_SL_
                                        ; -- End function
	.section	.AMDGPU.csdata,"",@progbits
; Kernel info:
; codeLenInByte = 144
; NumSgprs: 16
; NumVgprs: 4
; ScratchSize: 0
; MemoryBound: 0
; FloatMode: 240
; IeeeMode: 1
; LDSByteSize: 0 bytes/workgroup (compile time only)
; SGPRBlocks: 1
; VGPRBlocks: 0
; NumSGPRsForWavesPerEU: 16
; NumVGPRsForWavesPerEU: 4
; Occupancy: 10
; WaveLimiterHint : 0
; COMPUTE_PGM_RSRC2:SCRATCH_EN: 0
; COMPUTE_PGM_RSRC2:USER_SGPR: 6
; COMPUTE_PGM_RSRC2:TRAP_HANDLER: 0
; COMPUTE_PGM_RSRC2:TGID_X_EN: 1
; COMPUTE_PGM_RSRC2:TGID_Y_EN: 0
; COMPUTE_PGM_RSRC2:TGID_Z_EN: 0
; COMPUTE_PGM_RSRC2:TIDIG_COMP_CNT: 0
	.section	.text._ZN6thrust11hip_rocprim14__parallel_for6kernelILj256ENS0_10for_each_fINS_12zip_iteratorINS_5tupleINS_6detail15normal_iteratorINS_10device_ptrIdEEEESA_SA_NS_9null_typeESB_SB_SB_SB_SB_SB_EEEENS6_16wrapped_functionIZ4mainEUlNS5_IRdddSB_SB_SB_SB_SB_SB_SB_EEE_vEEEElLj1EEEvT0_T1_SL_,"axG",@progbits,_ZN6thrust11hip_rocprim14__parallel_for6kernelILj256ENS0_10for_each_fINS_12zip_iteratorINS_5tupleINS_6detail15normal_iteratorINS_10device_ptrIdEEEESA_SA_NS_9null_typeESB_SB_SB_SB_SB_SB_EEEENS6_16wrapped_functionIZ4mainEUlNS5_IRdddSB_SB_SB_SB_SB_SB_SB_EEE_vEEEElLj1EEEvT0_T1_SL_,comdat
	.globl	_ZN6thrust11hip_rocprim14__parallel_for6kernelILj256ENS0_10for_each_fINS_12zip_iteratorINS_5tupleINS_6detail15normal_iteratorINS_10device_ptrIdEEEESA_SA_NS_9null_typeESB_SB_SB_SB_SB_SB_EEEENS6_16wrapped_functionIZ4mainEUlNS5_IRdddSB_SB_SB_SB_SB_SB_SB_EEE_vEEEElLj1EEEvT0_T1_SL_ ; -- Begin function _ZN6thrust11hip_rocprim14__parallel_for6kernelILj256ENS0_10for_each_fINS_12zip_iteratorINS_5tupleINS_6detail15normal_iteratorINS_10device_ptrIdEEEESA_SA_NS_9null_typeESB_SB_SB_SB_SB_SB_EEEENS6_16wrapped_functionIZ4mainEUlNS5_IRdddSB_SB_SB_SB_SB_SB_SB_EEE_vEEEElLj1EEEvT0_T1_SL_
	.p2align	8
	.type	_ZN6thrust11hip_rocprim14__parallel_for6kernelILj256ENS0_10for_each_fINS_12zip_iteratorINS_5tupleINS_6detail15normal_iteratorINS_10device_ptrIdEEEESA_SA_NS_9null_typeESB_SB_SB_SB_SB_SB_EEEENS6_16wrapped_functionIZ4mainEUlNS5_IRdddSB_SB_SB_SB_SB_SB_SB_EEE_vEEEElLj1EEEvT0_T1_SL_,@function
_ZN6thrust11hip_rocprim14__parallel_for6kernelILj256ENS0_10for_each_fINS_12zip_iteratorINS_5tupleINS_6detail15normal_iteratorINS_10device_ptrIdEEEESA_SA_NS_9null_typeESB_SB_SB_SB_SB_SB_EEEENS6_16wrapped_functionIZ4mainEUlNS5_IRdddSB_SB_SB_SB_SB_SB_SB_EEE_vEEEElLj1EEEvT0_T1_SL_: ; @_ZN6thrust11hip_rocprim14__parallel_for6kernelILj256ENS0_10for_each_fINS_12zip_iteratorINS_5tupleINS_6detail15normal_iteratorINS_10device_ptrIdEEEESA_SA_NS_9null_typeESB_SB_SB_SB_SB_SB_EEEENS6_16wrapped_functionIZ4mainEUlNS5_IRdddSB_SB_SB_SB_SB_SB_SB_EEE_vEEEElLj1EEEvT0_T1_SL_
; %bb.0:
	s_load_dwordx4 s[8:11], s[4:5], 0x20
	s_lshl_b32 s0, s6, 8
	v_mov_b32_e32 v1, 0x100
	v_mov_b32_e32 v2, 0
	s_waitcnt lgkmcnt(0)
	s_add_u32 s0, s0, s10
	s_addc_u32 s1, 0, s11
	s_sub_u32 s2, s8, s0
	s_subb_u32 s3, s9, s1
	v_cmp_lt_i64_e32 vcc, s[2:3], v[1:2]
	s_and_b64 s[6:7], vcc, exec
	s_cselect_b32 s6, s2, 0x100
	s_cmpk_eq_i32 s6, 0x100
	s_cselect_b64 s[2:3], -1, 0
	v_cmp_gt_u32_e32 vcc, s6, v0
	s_or_b64 s[2:3], s[2:3], vcc
	s_and_saveexec_b64 s[6:7], s[2:3]
	s_cbranch_execz .LBB2_2
; %bb.1:
	s_load_dwordx8 s[4:11], s[4:5], 0x0
	v_mov_b32_e32 v1, s1
	v_add_co_u32_e32 v0, vcc, s0, v0
	v_addc_co_u32_e32 v1, vcc, 0, v1, vcc
	v_lshlrev_b64 v[0:1], 3, v[0:1]
	s_waitcnt lgkmcnt(0)
	v_mov_b32_e32 v3, s7
	v_add_co_u32_e32 v2, vcc, s6, v0
	v_addc_co_u32_e32 v3, vcc, v3, v1, vcc
	v_mov_b32_e32 v5, s9
	v_add_co_u32_e32 v4, vcc, s8, v0
	v_addc_co_u32_e32 v5, vcc, v5, v1, vcc
	global_load_dwordx2 v[6:7], v[2:3], off
	global_load_dwordx2 v[8:9], v[4:5], off
	v_mov_b32_e32 v2, s5
	v_add_co_u32_e32 v0, vcc, s4, v0
	v_addc_co_u32_e32 v1, vcc, v2, v1, vcc
	global_load_dwordx2 v[2:3], v[0:1], off
	s_waitcnt vmcnt(1)
	v_fma_f64 v[4:5], s[10:11], v[8:9], v[6:7]
	s_waitcnt vmcnt(0)
	v_add_f64 v[2:3], v[2:3], v[4:5]
	global_store_dwordx2 v[0:1], v[2:3], off
.LBB2_2:
	s_endpgm
	.section	.rodata,"a",@progbits
	.p2align	6, 0x0
	.amdhsa_kernel _ZN6thrust11hip_rocprim14__parallel_for6kernelILj256ENS0_10for_each_fINS_12zip_iteratorINS_5tupleINS_6detail15normal_iteratorINS_10device_ptrIdEEEESA_SA_NS_9null_typeESB_SB_SB_SB_SB_SB_EEEENS6_16wrapped_functionIZ4mainEUlNS5_IRdddSB_SB_SB_SB_SB_SB_SB_EEE_vEEEElLj1EEEvT0_T1_SL_
		.amdhsa_group_segment_fixed_size 0
		.amdhsa_private_segment_fixed_size 0
		.amdhsa_kernarg_size 48
		.amdhsa_user_sgpr_count 6
		.amdhsa_user_sgpr_private_segment_buffer 1
		.amdhsa_user_sgpr_dispatch_ptr 0
		.amdhsa_user_sgpr_queue_ptr 0
		.amdhsa_user_sgpr_kernarg_segment_ptr 1
		.amdhsa_user_sgpr_dispatch_id 0
		.amdhsa_user_sgpr_flat_scratch_init 0
		.amdhsa_user_sgpr_private_segment_size 0
		.amdhsa_uses_dynamic_stack 0
		.amdhsa_system_sgpr_private_segment_wavefront_offset 0
		.amdhsa_system_sgpr_workgroup_id_x 1
		.amdhsa_system_sgpr_workgroup_id_y 0
		.amdhsa_system_sgpr_workgroup_id_z 0
		.amdhsa_system_sgpr_workgroup_info 0
		.amdhsa_system_vgpr_workitem_id 0
		.amdhsa_next_free_vgpr 10
		.amdhsa_next_free_sgpr 12
		.amdhsa_reserve_vcc 1
		.amdhsa_reserve_flat_scratch 0
		.amdhsa_float_round_mode_32 0
		.amdhsa_float_round_mode_16_64 0
		.amdhsa_float_denorm_mode_32 3
		.amdhsa_float_denorm_mode_16_64 3
		.amdhsa_dx10_clamp 1
		.amdhsa_ieee_mode 1
		.amdhsa_fp16_overflow 0
		.amdhsa_exception_fp_ieee_invalid_op 0
		.amdhsa_exception_fp_denorm_src 0
		.amdhsa_exception_fp_ieee_div_zero 0
		.amdhsa_exception_fp_ieee_overflow 0
		.amdhsa_exception_fp_ieee_underflow 0
		.amdhsa_exception_fp_ieee_inexact 0
		.amdhsa_exception_int_div_zero 0
	.end_amdhsa_kernel
	.section	.text._ZN6thrust11hip_rocprim14__parallel_for6kernelILj256ENS0_10for_each_fINS_12zip_iteratorINS_5tupleINS_6detail15normal_iteratorINS_10device_ptrIdEEEESA_SA_NS_9null_typeESB_SB_SB_SB_SB_SB_EEEENS6_16wrapped_functionIZ4mainEUlNS5_IRdddSB_SB_SB_SB_SB_SB_SB_EEE_vEEEElLj1EEEvT0_T1_SL_,"axG",@progbits,_ZN6thrust11hip_rocprim14__parallel_for6kernelILj256ENS0_10for_each_fINS_12zip_iteratorINS_5tupleINS_6detail15normal_iteratorINS_10device_ptrIdEEEESA_SA_NS_9null_typeESB_SB_SB_SB_SB_SB_EEEENS6_16wrapped_functionIZ4mainEUlNS5_IRdddSB_SB_SB_SB_SB_SB_SB_EEE_vEEEElLj1EEEvT0_T1_SL_,comdat
.Lfunc_end2:
	.size	_ZN6thrust11hip_rocprim14__parallel_for6kernelILj256ENS0_10for_each_fINS_12zip_iteratorINS_5tupleINS_6detail15normal_iteratorINS_10device_ptrIdEEEESA_SA_NS_9null_typeESB_SB_SB_SB_SB_SB_EEEENS6_16wrapped_functionIZ4mainEUlNS5_IRdddSB_SB_SB_SB_SB_SB_SB_EEE_vEEEElLj1EEEvT0_T1_SL_, .Lfunc_end2-_ZN6thrust11hip_rocprim14__parallel_for6kernelILj256ENS0_10for_each_fINS_12zip_iteratorINS_5tupleINS_6detail15normal_iteratorINS_10device_ptrIdEEEESA_SA_NS_9null_typeESB_SB_SB_SB_SB_SB_EEEENS6_16wrapped_functionIZ4mainEUlNS5_IRdddSB_SB_SB_SB_SB_SB_SB_EEE_vEEEElLj1EEEvT0_T1_SL_
                                        ; -- End function
	.section	.AMDGPU.csdata,"",@progbits
; Kernel info:
; codeLenInByte = 212
; NumSgprs: 16
; NumVgprs: 10
; ScratchSize: 0
; MemoryBound: 0
; FloatMode: 240
; IeeeMode: 1
; LDSByteSize: 0 bytes/workgroup (compile time only)
; SGPRBlocks: 1
; VGPRBlocks: 2
; NumSGPRsForWavesPerEU: 16
; NumVGPRsForWavesPerEU: 10
; Occupancy: 10
; WaveLimiterHint : 0
; COMPUTE_PGM_RSRC2:SCRATCH_EN: 0
; COMPUTE_PGM_RSRC2:USER_SGPR: 6
; COMPUTE_PGM_RSRC2:TRAP_HANDLER: 0
; COMPUTE_PGM_RSRC2:TGID_X_EN: 1
; COMPUTE_PGM_RSRC2:TGID_Y_EN: 0
; COMPUTE_PGM_RSRC2:TGID_Z_EN: 0
; COMPUTE_PGM_RSRC2:TIDIG_COMP_CNT: 0
	.section	.text._ZN7rocprim6detail19block_reduce_kernelILb0ELb1ELj1ENS0_21wrapped_reduce_configINS_14default_configEdEEdPdS5_dN6thrust4plusIdEEEEvT4_mT5_T6_T7_,"axG",@progbits,_ZN7rocprim6detail19block_reduce_kernelILb0ELb1ELj1ENS0_21wrapped_reduce_configINS_14default_configEdEEdPdS5_dN6thrust4plusIdEEEEvT4_mT5_T6_T7_,comdat
	.protected	_ZN7rocprim6detail19block_reduce_kernelILb0ELb1ELj1ENS0_21wrapped_reduce_configINS_14default_configEdEEdPdS5_dN6thrust4plusIdEEEEvT4_mT5_T6_T7_ ; -- Begin function _ZN7rocprim6detail19block_reduce_kernelILb0ELb1ELj1ENS0_21wrapped_reduce_configINS_14default_configEdEEdPdS5_dN6thrust4plusIdEEEEvT4_mT5_T6_T7_
	.globl	_ZN7rocprim6detail19block_reduce_kernelILb0ELb1ELj1ENS0_21wrapped_reduce_configINS_14default_configEdEEdPdS5_dN6thrust4plusIdEEEEvT4_mT5_T6_T7_
	.p2align	8
	.type	_ZN7rocprim6detail19block_reduce_kernelILb0ELb1ELj1ENS0_21wrapped_reduce_configINS_14default_configEdEEdPdS5_dN6thrust4plusIdEEEEvT4_mT5_T6_T7_,@function
_ZN7rocprim6detail19block_reduce_kernelILb0ELb1ELj1ENS0_21wrapped_reduce_configINS_14default_configEdEEdPdS5_dN6thrust4plusIdEEEEvT4_mT5_T6_T7_: ; @_ZN7rocprim6detail19block_reduce_kernelILb0ELb1ELj1ENS0_21wrapped_reduce_configINS_14default_configEdEEdPdS5_dN6thrust4plusIdEEEEvT4_mT5_T6_T7_
; %bb.0:
	s_load_dwordx8 s[8:15], s[4:5], 0x0
	s_lshl_b32 s0, s6, 9
	s_mov_b32 s1, 0
	s_lshl_b64 s[4:5], s[0:1], 3
	s_mov_b32 s7, s1
	s_waitcnt lgkmcnt(0)
	s_lshr_b64 s[2:3], s[10:11], 9
	s_add_u32 s1, s8, s4
	s_addc_u32 s4, s9, s5
	v_lshlrev_b32_e32 v1, 3, v0
	v_mov_b32_e32 v2, s4
	v_add_co_u32_e32 v9, vcc, s1, v1
	s_cmp_lg_u64 s[2:3], s[6:7]
	v_addc_co_u32_e32 v10, vcc, 0, v2, vcc
	v_mbcnt_lo_u32_b32 v11, -1, 0
	s_cbranch_scc0 .LBB3_6
; %bb.1:
	global_load_dwordx2 v[1:2], v[9:10], off
	global_load_dwordx2 v[3:4], v[9:10], off offset:1024
	global_load_dwordx2 v[5:6], v[9:10], off offset:2048
	;; [unrolled: 1-line block ×3, first 2 shown]
	s_waitcnt vmcnt(2)
	v_add_f64 v[1:2], v[1:2], v[3:4]
	s_waitcnt vmcnt(1)
	v_add_f64 v[1:2], v[1:2], v[5:6]
	;; [unrolled: 2-line block ×3, first 2 shown]
	s_nop 1
	v_mov_b32_dpp v3, v1 quad_perm:[1,0,3,2] row_mask:0xf bank_mask:0xf
	v_mov_b32_dpp v4, v2 quad_perm:[1,0,3,2] row_mask:0xf bank_mask:0xf
	v_add_f64 v[1:2], v[1:2], v[3:4]
	s_nop 1
	v_mov_b32_dpp v3, v1 quad_perm:[2,3,0,1] row_mask:0xf bank_mask:0xf
	v_mov_b32_dpp v4, v2 quad_perm:[2,3,0,1] row_mask:0xf bank_mask:0xf
	v_add_f64 v[1:2], v[1:2], v[3:4]
	s_nop 1
	v_mov_b32_dpp v3, v1 row_ror:4 row_mask:0xf bank_mask:0xf
	v_mov_b32_dpp v4, v2 row_ror:4 row_mask:0xf bank_mask:0xf
	v_add_f64 v[1:2], v[1:2], v[3:4]
	s_nop 1
	v_mov_b32_dpp v3, v1 row_ror:8 row_mask:0xf bank_mask:0xf
	v_mov_b32_dpp v4, v2 row_ror:8 row_mask:0xf bank_mask:0xf
	v_add_f64 v[1:2], v[1:2], v[3:4]
	s_nop 1
	v_mov_b32_dpp v3, v1 row_bcast:15 row_mask:0xf bank_mask:0xf
	v_mov_b32_dpp v4, v2 row_bcast:15 row_mask:0xf bank_mask:0xf
	v_add_f64 v[1:2], v[1:2], v[3:4]
	s_nop 1
	v_mov_b32_dpp v3, v1 row_bcast:31 row_mask:0xf bank_mask:0xf
	v_mov_b32_dpp v4, v2 row_bcast:31 row_mask:0xf bank_mask:0xf
	v_add_f64 v[1:2], v[1:2], v[3:4]
	v_mbcnt_hi_u32_b32 v4, -1, v11
	v_lshlrev_b32_e32 v3, 2, v4
	v_or_b32_e32 v5, 0xfc, v3
	v_cmp_eq_u32_e32 vcc, 0, v4
	ds_bpermute_b32 v1, v5, v1
	ds_bpermute_b32 v2, v5, v2
	s_and_saveexec_b64 s[2:3], vcc
	s_cbranch_execz .LBB3_3
; %bb.2:
	v_lshrrev_b32_e32 v5, 3, v0
	v_and_b32_e32 v5, 8, v5
	s_waitcnt lgkmcnt(0)
	ds_write_b64 v5, v[1:2]
.LBB3_3:
	s_or_b64 exec, exec, s[2:3]
	v_cmp_gt_u32_e32 vcc, 64, v0
	s_waitcnt lgkmcnt(0)
	s_barrier
	s_and_saveexec_b64 s[2:3], vcc
	s_cbranch_execz .LBB3_5
; %bb.4:
	v_and_b32_e32 v1, 1, v4
	v_lshlrev_b32_e32 v1, 3, v1
	ds_read_b64 v[1:2], v1
	v_or_b32_e32 v4, 4, v3
	s_waitcnt lgkmcnt(0)
	ds_bpermute_b32 v3, v4, v1
	ds_bpermute_b32 v4, v4, v2
	s_waitcnt lgkmcnt(0)
	v_add_f64 v[1:2], v[1:2], v[3:4]
.LBB3_5:
	s_or_b64 exec, exec, s[2:3]
	s_branch .LBB3_30
.LBB3_6:
                                        ; implicit-def: $vgpr1_vgpr2
	s_cbranch_execz .LBB3_30
; %bb.7:
	s_sub_i32 s8, s10, s0
	v_cmp_gt_u32_e32 vcc, s8, v0
                                        ; implicit-def: $vgpr1_vgpr2_vgpr3_vgpr4_vgpr5_vgpr6_vgpr7_vgpr8
	s_and_saveexec_b64 s[0:1], vcc
	s_cbranch_execz .LBB3_9
; %bb.8:
	global_load_dwordx2 v[1:2], v[9:10], off
.LBB3_9:
	s_or_b64 exec, exec, s[0:1]
	v_or_b32_e32 v12, 0x80, v0
	v_cmp_gt_u32_e32 vcc, s8, v12
	s_and_saveexec_b64 s[0:1], vcc
	s_cbranch_execz .LBB3_11
; %bb.10:
	global_load_dwordx2 v[3:4], v[9:10], off offset:1024
.LBB3_11:
	s_or_b64 exec, exec, s[0:1]
	v_or_b32_e32 v12, 0x100, v0
	v_cmp_gt_u32_e64 s[2:3], s8, v12
	s_and_saveexec_b64 s[0:1], s[2:3]
	s_cbranch_execz .LBB3_13
; %bb.12:
	global_load_dwordx2 v[5:6], v[9:10], off offset:2048
.LBB3_13:
	s_or_b64 exec, exec, s[0:1]
	v_or_b32_e32 v12, 0x180, v0
	v_cmp_gt_u32_e64 s[0:1], s8, v12
	s_and_saveexec_b64 s[4:5], s[0:1]
	s_cbranch_execz .LBB3_15
; %bb.14:
	global_load_dwordx2 v[7:8], v[9:10], off offset:3072
.LBB3_15:
	s_or_b64 exec, exec, s[4:5]
	s_waitcnt vmcnt(0)
	v_add_f64 v[3:4], v[1:2], v[3:4]
	v_cndmask_b32_e32 v2, v2, v4, vcc
	v_cndmask_b32_e32 v1, v1, v3, vcc
	v_add_f64 v[3:4], v[5:6], v[1:2]
	v_mbcnt_hi_u32_b32 v5, -1, v11
	v_cndmask_b32_e64 v2, v2, v4, s[2:3]
	v_cndmask_b32_e64 v1, v1, v3, s[2:3]
	v_add_f64 v[3:4], v[7:8], v[1:2]
	v_and_b32_e32 v7, 63, v5
	v_cmp_ne_u32_e32 vcc, 63, v7
	v_addc_co_u32_e32 v6, vcc, 0, v5, vcc
	v_lshlrev_b32_e32 v6, 2, v6
	s_min_u32 s2, s8, 0x80
	v_add_u32_e32 v8, 1, v5
	v_cndmask_b32_e64 v2, v2, v4, s[0:1]
	v_cndmask_b32_e64 v1, v1, v3, s[0:1]
	ds_bpermute_b32 v3, v6, v1
	ds_bpermute_b32 v4, v6, v2
	v_and_b32_e32 v6, 64, v0
	v_sub_u32_e64 v6, s2, v6 clamp
	v_cmp_lt_u32_e32 vcc, v8, v6
	s_and_saveexec_b64 s[0:1], vcc
	s_cbranch_execz .LBB3_17
; %bb.16:
	s_waitcnt lgkmcnt(0)
	v_add_f64 v[1:2], v[1:2], v[3:4]
.LBB3_17:
	s_or_b64 exec, exec, s[0:1]
	v_cmp_gt_u32_e32 vcc, 62, v7
	s_waitcnt lgkmcnt(1)
	v_cndmask_b32_e64 v3, 0, 1, vcc
	v_lshlrev_b32_e32 v3, 1, v3
	s_waitcnt lgkmcnt(0)
	v_add_lshl_u32 v4, v3, v5, 2
	ds_bpermute_b32 v3, v4, v1
	ds_bpermute_b32 v4, v4, v2
	v_add_u32_e32 v8, 2, v5
	v_cmp_lt_u32_e32 vcc, v8, v6
	s_and_saveexec_b64 s[0:1], vcc
	s_cbranch_execz .LBB3_19
; %bb.18:
	s_waitcnt lgkmcnt(0)
	v_add_f64 v[1:2], v[1:2], v[3:4]
.LBB3_19:
	s_or_b64 exec, exec, s[0:1]
	v_cmp_gt_u32_e32 vcc, 60, v7
	s_waitcnt lgkmcnt(1)
	v_cndmask_b32_e64 v3, 0, 1, vcc
	v_lshlrev_b32_e32 v3, 2, v3
	s_waitcnt lgkmcnt(0)
	v_add_lshl_u32 v4, v3, v5, 2
	ds_bpermute_b32 v3, v4, v1
	ds_bpermute_b32 v4, v4, v2
	v_add_u32_e32 v8, 4, v5
	;; [unrolled: 17-line block ×5, first 2 shown]
	v_cmp_lt_u32_e32 vcc, v7, v6
	s_waitcnt lgkmcnt(0)
	v_add_f64 v[3:4], v[1:2], v[3:4]
	v_cndmask_b32_e32 v2, v2, v4, vcc
	v_cndmask_b32_e32 v1, v1, v3, vcc
	v_cmp_eq_u32_e32 vcc, 0, v5
	s_and_saveexec_b64 s[0:1], vcc
	s_cbranch_execz .LBB3_27
; %bb.26:
	v_lshrrev_b32_e32 v3, 3, v0
	v_and_b32_e32 v3, 8, v3
	ds_write_b64 v3, v[1:2] offset:16
.LBB3_27:
	s_or_b64 exec, exec, s[0:1]
	v_cmp_gt_u32_e32 vcc, 2, v0
	s_waitcnt lgkmcnt(0)
	s_barrier
	s_and_saveexec_b64 s[0:1], vcc
	s_cbranch_execz .LBB3_29
; %bb.28:
	v_lshlrev_b32_e32 v1, 3, v5
	ds_read_b64 v[1:2], v1 offset:16
	v_lshl_or_b32 v4, v5, 2, 4
	s_add_i32 s2, s2, 63
	v_and_b32_e32 v5, 1, v5
	s_lshr_b32 s2, s2, 6
	s_waitcnt lgkmcnt(0)
	ds_bpermute_b32 v3, v4, v1
	ds_bpermute_b32 v4, v4, v2
	v_add_u32_e32 v5, 1, v5
	v_cmp_gt_u32_e32 vcc, s2, v5
	s_waitcnt lgkmcnt(0)
	v_add_f64 v[3:4], v[1:2], v[3:4]
	v_cndmask_b32_e32 v2, v2, v4, vcc
	v_cndmask_b32_e32 v1, v1, v3, vcc
.LBB3_29:
	s_or_b64 exec, exec, s[0:1]
.LBB3_30:
	v_cmp_eq_u32_e32 vcc, 0, v0
	s_and_saveexec_b64 s[0:1], vcc
	s_cbranch_execnz .LBB3_32
; %bb.31:
	s_endpgm
.LBB3_32:
	s_lshl_b64 s[0:1], s[6:7], 3
	s_add_u32 s0, s12, s0
	s_addc_u32 s1, s13, s1
	s_cmp_eq_u64 s[10:11], 0
	v_mov_b32_e32 v3, s15
	s_cselect_b64 vcc, -1, 0
	v_cndmask_b32_e32 v2, v2, v3, vcc
	v_mov_b32_e32 v3, s14
	v_mov_b32_e32 v0, 0
	v_cndmask_b32_e32 v1, v1, v3, vcc
	global_store_dwordx2 v0, v[1:2], s[0:1]
	s_endpgm
	.section	.rodata,"a",@progbits
	.p2align	6, 0x0
	.amdhsa_kernel _ZN7rocprim6detail19block_reduce_kernelILb0ELb1ELj1ENS0_21wrapped_reduce_configINS_14default_configEdEEdPdS5_dN6thrust4plusIdEEEEvT4_mT5_T6_T7_
		.amdhsa_group_segment_fixed_size 32
		.amdhsa_private_segment_fixed_size 0
		.amdhsa_kernarg_size 36
		.amdhsa_user_sgpr_count 6
		.amdhsa_user_sgpr_private_segment_buffer 1
		.amdhsa_user_sgpr_dispatch_ptr 0
		.amdhsa_user_sgpr_queue_ptr 0
		.amdhsa_user_sgpr_kernarg_segment_ptr 1
		.amdhsa_user_sgpr_dispatch_id 0
		.amdhsa_user_sgpr_flat_scratch_init 0
		.amdhsa_user_sgpr_private_segment_size 0
		.amdhsa_uses_dynamic_stack 0
		.amdhsa_system_sgpr_private_segment_wavefront_offset 0
		.amdhsa_system_sgpr_workgroup_id_x 1
		.amdhsa_system_sgpr_workgroup_id_y 0
		.amdhsa_system_sgpr_workgroup_id_z 0
		.amdhsa_system_sgpr_workgroup_info 0
		.amdhsa_system_vgpr_workitem_id 0
		.amdhsa_next_free_vgpr 13
		.amdhsa_next_free_sgpr 16
		.amdhsa_reserve_vcc 1
		.amdhsa_reserve_flat_scratch 0
		.amdhsa_float_round_mode_32 0
		.amdhsa_float_round_mode_16_64 0
		.amdhsa_float_denorm_mode_32 3
		.amdhsa_float_denorm_mode_16_64 3
		.amdhsa_dx10_clamp 1
		.amdhsa_ieee_mode 1
		.amdhsa_fp16_overflow 0
		.amdhsa_exception_fp_ieee_invalid_op 0
		.amdhsa_exception_fp_denorm_src 0
		.amdhsa_exception_fp_ieee_div_zero 0
		.amdhsa_exception_fp_ieee_overflow 0
		.amdhsa_exception_fp_ieee_underflow 0
		.amdhsa_exception_fp_ieee_inexact 0
		.amdhsa_exception_int_div_zero 0
	.end_amdhsa_kernel
	.section	.text._ZN7rocprim6detail19block_reduce_kernelILb0ELb1ELj1ENS0_21wrapped_reduce_configINS_14default_configEdEEdPdS5_dN6thrust4plusIdEEEEvT4_mT5_T6_T7_,"axG",@progbits,_ZN7rocprim6detail19block_reduce_kernelILb0ELb1ELj1ENS0_21wrapped_reduce_configINS_14default_configEdEEdPdS5_dN6thrust4plusIdEEEEvT4_mT5_T6_T7_,comdat
.Lfunc_end3:
	.size	_ZN7rocprim6detail19block_reduce_kernelILb0ELb1ELj1ENS0_21wrapped_reduce_configINS_14default_configEdEEdPdS5_dN6thrust4plusIdEEEEvT4_mT5_T6_T7_, .Lfunc_end3-_ZN7rocprim6detail19block_reduce_kernelILb0ELb1ELj1ENS0_21wrapped_reduce_configINS_14default_configEdEEdPdS5_dN6thrust4plusIdEEEEvT4_mT5_T6_T7_
                                        ; -- End function
	.section	.AMDGPU.csdata,"",@progbits
; Kernel info:
; codeLenInByte = 1356
; NumSgprs: 20
; NumVgprs: 13
; ScratchSize: 0
; MemoryBound: 1
; FloatMode: 240
; IeeeMode: 1
; LDSByteSize: 32 bytes/workgroup (compile time only)
; SGPRBlocks: 2
; VGPRBlocks: 3
; NumSGPRsForWavesPerEU: 20
; NumVGPRsForWavesPerEU: 13
; Occupancy: 8
; WaveLimiterHint : 1
; COMPUTE_PGM_RSRC2:SCRATCH_EN: 0
; COMPUTE_PGM_RSRC2:USER_SGPR: 6
; COMPUTE_PGM_RSRC2:TRAP_HANDLER: 0
; COMPUTE_PGM_RSRC2:TGID_X_EN: 1
; COMPUTE_PGM_RSRC2:TGID_Y_EN: 0
; COMPUTE_PGM_RSRC2:TGID_Z_EN: 0
; COMPUTE_PGM_RSRC2:TIDIG_COMP_CNT: 0
	.section	.text._ZN7rocprim6detail19block_reduce_kernelILb1ELb1ELj2ENS0_21wrapped_reduce_configINS_14default_configEdEEdPdS5_dN6thrust4plusIdEEEEvT4_mT5_T6_T7_,"axG",@progbits,_ZN7rocprim6detail19block_reduce_kernelILb1ELb1ELj2ENS0_21wrapped_reduce_configINS_14default_configEdEEdPdS5_dN6thrust4plusIdEEEEvT4_mT5_T6_T7_,comdat
	.protected	_ZN7rocprim6detail19block_reduce_kernelILb1ELb1ELj2ENS0_21wrapped_reduce_configINS_14default_configEdEEdPdS5_dN6thrust4plusIdEEEEvT4_mT5_T6_T7_ ; -- Begin function _ZN7rocprim6detail19block_reduce_kernelILb1ELb1ELj2ENS0_21wrapped_reduce_configINS_14default_configEdEEdPdS5_dN6thrust4plusIdEEEEvT4_mT5_T6_T7_
	.globl	_ZN7rocprim6detail19block_reduce_kernelILb1ELb1ELj2ENS0_21wrapped_reduce_configINS_14default_configEdEEdPdS5_dN6thrust4plusIdEEEEvT4_mT5_T6_T7_
	.p2align	8
	.type	_ZN7rocprim6detail19block_reduce_kernelILb1ELb1ELj2ENS0_21wrapped_reduce_configINS_14default_configEdEEdPdS5_dN6thrust4plusIdEEEEvT4_mT5_T6_T7_,@function
_ZN7rocprim6detail19block_reduce_kernelILb1ELb1ELj2ENS0_21wrapped_reduce_configINS_14default_configEdEEdPdS5_dN6thrust4plusIdEEEEvT4_mT5_T6_T7_: ; @_ZN7rocprim6detail19block_reduce_kernelILb1ELb1ELj2ENS0_21wrapped_reduce_configINS_14default_configEdEEdPdS5_dN6thrust4plusIdEEEEvT4_mT5_T6_T7_
; %bb.0:
	s_load_dwordx8 s[16:23], s[4:5], 0x0
	s_lshl_b32 s0, s6, 10
	s_mov_b32 s1, 0
	s_lshl_b64 s[4:5], s[0:1], 3
	s_mov_b32 s7, s1
	s_waitcnt lgkmcnt(0)
	s_lshr_b64 s[2:3], s[18:19], 10
	s_add_u32 s1, s16, s4
	s_addc_u32 s4, s17, s5
	v_lshlrev_b32_e32 v1, 3, v0
	v_mov_b32_e32 v2, s4
	v_add_co_u32_e32 v17, vcc, s1, v1
	s_cmp_lg_u64 s[2:3], s[6:7]
	v_addc_co_u32_e32 v18, vcc, 0, v2, vcc
	v_mbcnt_lo_u32_b32 v19, -1, 0
	s_cbranch_scc0 .LBB4_6
; %bb.1:
	global_load_dwordx2 v[1:2], v[17:18], off
	global_load_dwordx2 v[3:4], v[17:18], off offset:1024
	global_load_dwordx2 v[5:6], v[17:18], off offset:2048
	;; [unrolled: 1-line block ×3, first 2 shown]
	v_add_co_u32_e32 v9, vcc, 0x1000, v17
	v_addc_co_u32_e32 v10, vcc, 0, v18, vcc
	global_load_dwordx2 v[11:12], v[9:10], off
	global_load_dwordx2 v[13:14], v[9:10], off offset:1024
	global_load_dwordx2 v[15:16], v[9:10], off offset:2048
	;; [unrolled: 1-line block ×3, first 2 shown]
	s_waitcnt vmcnt(6)
	v_add_f64 v[1:2], v[1:2], v[3:4]
	s_waitcnt vmcnt(5)
	v_add_f64 v[1:2], v[1:2], v[5:6]
	;; [unrolled: 2-line block ×7, first 2 shown]
	s_nop 1
	v_mov_b32_dpp v3, v1 quad_perm:[1,0,3,2] row_mask:0xf bank_mask:0xf
	v_mov_b32_dpp v4, v2 quad_perm:[1,0,3,2] row_mask:0xf bank_mask:0xf
	v_add_f64 v[1:2], v[1:2], v[3:4]
	s_nop 1
	v_mov_b32_dpp v3, v1 quad_perm:[2,3,0,1] row_mask:0xf bank_mask:0xf
	v_mov_b32_dpp v4, v2 quad_perm:[2,3,0,1] row_mask:0xf bank_mask:0xf
	v_add_f64 v[1:2], v[1:2], v[3:4]
	s_nop 1
	v_mov_b32_dpp v3, v1 row_ror:4 row_mask:0xf bank_mask:0xf
	v_mov_b32_dpp v4, v2 row_ror:4 row_mask:0xf bank_mask:0xf
	v_add_f64 v[1:2], v[1:2], v[3:4]
	s_nop 1
	v_mov_b32_dpp v3, v1 row_ror:8 row_mask:0xf bank_mask:0xf
	v_mov_b32_dpp v4, v2 row_ror:8 row_mask:0xf bank_mask:0xf
	v_add_f64 v[1:2], v[1:2], v[3:4]
	s_nop 1
	v_mov_b32_dpp v3, v1 row_bcast:15 row_mask:0xf bank_mask:0xf
	v_mov_b32_dpp v4, v2 row_bcast:15 row_mask:0xf bank_mask:0xf
	v_add_f64 v[1:2], v[1:2], v[3:4]
	s_nop 1
	v_mov_b32_dpp v3, v1 row_bcast:31 row_mask:0xf bank_mask:0xf
	v_mov_b32_dpp v4, v2 row_bcast:31 row_mask:0xf bank_mask:0xf
	v_add_f64 v[1:2], v[1:2], v[3:4]
	v_mbcnt_hi_u32_b32 v4, -1, v19
	v_lshlrev_b32_e32 v3, 2, v4
	v_or_b32_e32 v5, 0xfc, v3
	v_cmp_eq_u32_e32 vcc, 0, v4
	ds_bpermute_b32 v1, v5, v1
	ds_bpermute_b32 v2, v5, v2
	s_and_saveexec_b64 s[2:3], vcc
	s_cbranch_execz .LBB4_3
; %bb.2:
	v_lshrrev_b32_e32 v5, 3, v0
	v_and_b32_e32 v5, 8, v5
	s_waitcnt lgkmcnt(0)
	ds_write_b64 v5, v[1:2]
.LBB4_3:
	s_or_b64 exec, exec, s[2:3]
	v_cmp_gt_u32_e32 vcc, 64, v0
	s_waitcnt lgkmcnt(0)
	s_barrier
	s_and_saveexec_b64 s[2:3], vcc
	s_cbranch_execz .LBB4_5
; %bb.4:
	v_and_b32_e32 v1, 1, v4
	v_lshlrev_b32_e32 v1, 3, v1
	ds_read_b64 v[1:2], v1
	v_or_b32_e32 v4, 4, v3
	s_waitcnt lgkmcnt(0)
	ds_bpermute_b32 v3, v4, v1
	ds_bpermute_b32 v4, v4, v2
	s_waitcnt lgkmcnt(0)
	v_add_f64 v[1:2], v[1:2], v[3:4]
.LBB4_5:
	s_or_b64 exec, exec, s[2:3]
	s_branch .LBB4_38
.LBB4_6:
                                        ; implicit-def: $vgpr1_vgpr2
	s_cbranch_execz .LBB4_38
; %bb.7:
	s_sub_i32 s24, s18, s0
	v_cmp_gt_u32_e32 vcc, s24, v0
                                        ; implicit-def: $vgpr1_vgpr2_vgpr3_vgpr4_vgpr5_vgpr6_vgpr7_vgpr8_vgpr9_vgpr10_vgpr11_vgpr12_vgpr13_vgpr14_vgpr15_vgpr16
	s_and_saveexec_b64 s[0:1], vcc
	s_cbranch_execz .LBB4_9
; %bb.8:
	global_load_dwordx2 v[1:2], v[17:18], off
.LBB4_9:
	s_or_b64 exec, exec, s[0:1]
	v_or_b32_e32 v20, 0x80, v0
	v_cmp_gt_u32_e64 s[0:1], s24, v20
	s_and_saveexec_b64 s[2:3], s[0:1]
	s_cbranch_execz .LBB4_11
; %bb.10:
	global_load_dwordx2 v[3:4], v[17:18], off offset:1024
.LBB4_11:
	s_or_b64 exec, exec, s[2:3]
	v_or_b32_e32 v20, 0x100, v0
	v_cmp_gt_u32_e64 s[2:3], s24, v20
	s_and_saveexec_b64 s[4:5], s[2:3]
	s_cbranch_execz .LBB4_13
; %bb.12:
	global_load_dwordx2 v[5:6], v[17:18], off offset:2048
.LBB4_13:
	;; [unrolled: 8-line block ×3, first 2 shown]
	s_or_b64 exec, exec, s[8:9]
	v_or_b32_e32 v20, 0x200, v0
	v_cmp_gt_u32_e64 s[8:9], s24, v20
	s_and_saveexec_b64 s[10:11], s[8:9]
	s_cbranch_execz .LBB4_17
; %bb.16:
	v_add_co_u32_e32 v9, vcc, 0x1000, v17
	v_addc_co_u32_e32 v10, vcc, 0, v18, vcc
	global_load_dwordx2 v[9:10], v[9:10], off
.LBB4_17:
	s_or_b64 exec, exec, s[10:11]
	v_or_b32_e32 v20, 0x280, v0
	v_cmp_gt_u32_e64 s[10:11], s24, v20
	s_and_saveexec_b64 s[12:13], s[10:11]
	s_cbranch_execz .LBB4_19
; %bb.18:
	v_add_co_u32_e32 v11, vcc, 0x1000, v17
	v_addc_co_u32_e32 v12, vcc, 0, v18, vcc
	global_load_dwordx2 v[11:12], v[11:12], off offset:1024
.LBB4_19:
	s_or_b64 exec, exec, s[12:13]
	v_or_b32_e32 v20, 0x300, v0
	v_cmp_gt_u32_e64 s[12:13], s24, v20
	s_and_saveexec_b64 s[14:15], s[12:13]
	s_cbranch_execz .LBB4_21
; %bb.20:
	v_add_co_u32_e32 v13, vcc, 0x1000, v17
	v_addc_co_u32_e32 v14, vcc, 0, v18, vcc
	global_load_dwordx2 v[13:14], v[13:14], off offset:2048
.LBB4_21:
	;; [unrolled: 10-line block ×3, first 2 shown]
	s_or_b64 exec, exec, s[16:17]
	s_waitcnt vmcnt(0)
	v_add_f64 v[3:4], v[1:2], v[3:4]
	v_cndmask_b32_e64 v2, v2, v4, s[0:1]
	v_cndmask_b32_e64 v1, v1, v3, s[0:1]
	v_add_f64 v[3:4], v[5:6], v[1:2]
	v_mbcnt_hi_u32_b32 v5, -1, v19
	v_cndmask_b32_e64 v2, v2, v4, s[2:3]
	v_cndmask_b32_e64 v1, v1, v3, s[2:3]
	v_add_f64 v[3:4], v[7:8], v[1:2]
	v_and_b32_e32 v7, 63, v5
	v_cmp_ne_u32_e32 vcc, 63, v7
	v_addc_co_u32_e32 v6, vcc, 0, v5, vcc
	v_lshlrev_b32_e32 v6, 2, v6
	s_min_u32 s2, s24, 0x80
	v_add_u32_e32 v8, 1, v5
	v_cndmask_b32_e64 v2, v2, v4, s[4:5]
	v_cndmask_b32_e64 v1, v1, v3, s[4:5]
	v_add_f64 v[3:4], v[9:10], v[1:2]
	v_cndmask_b32_e64 v2, v2, v4, s[8:9]
	v_cndmask_b32_e64 v1, v1, v3, s[8:9]
	v_add_f64 v[3:4], v[11:12], v[1:2]
	;; [unrolled: 3-line block ×4, first 2 shown]
	v_cndmask_b32_e64 v2, v2, v4, s[14:15]
	v_cndmask_b32_e64 v1, v1, v3, s[14:15]
	ds_bpermute_b32 v3, v6, v1
	ds_bpermute_b32 v4, v6, v2
	v_and_b32_e32 v6, 64, v0
	v_sub_u32_e64 v6, s2, v6 clamp
	v_cmp_lt_u32_e32 vcc, v8, v6
	s_and_saveexec_b64 s[0:1], vcc
	s_cbranch_execz .LBB4_25
; %bb.24:
	s_waitcnt lgkmcnt(0)
	v_add_f64 v[1:2], v[1:2], v[3:4]
.LBB4_25:
	s_or_b64 exec, exec, s[0:1]
	v_cmp_gt_u32_e32 vcc, 62, v7
	s_waitcnt lgkmcnt(1)
	v_cndmask_b32_e64 v3, 0, 1, vcc
	v_lshlrev_b32_e32 v3, 1, v3
	s_waitcnt lgkmcnt(0)
	v_add_lshl_u32 v4, v3, v5, 2
	ds_bpermute_b32 v3, v4, v1
	ds_bpermute_b32 v4, v4, v2
	v_add_u32_e32 v8, 2, v5
	v_cmp_lt_u32_e32 vcc, v8, v6
	s_and_saveexec_b64 s[0:1], vcc
	s_cbranch_execz .LBB4_27
; %bb.26:
	s_waitcnt lgkmcnt(0)
	v_add_f64 v[1:2], v[1:2], v[3:4]
.LBB4_27:
	s_or_b64 exec, exec, s[0:1]
	v_cmp_gt_u32_e32 vcc, 60, v7
	s_waitcnt lgkmcnt(1)
	v_cndmask_b32_e64 v3, 0, 1, vcc
	v_lshlrev_b32_e32 v3, 2, v3
	s_waitcnt lgkmcnt(0)
	v_add_lshl_u32 v4, v3, v5, 2
	ds_bpermute_b32 v3, v4, v1
	ds_bpermute_b32 v4, v4, v2
	v_add_u32_e32 v8, 4, v5
	v_cmp_lt_u32_e32 vcc, v8, v6
	s_and_saveexec_b64 s[0:1], vcc
	s_cbranch_execz .LBB4_29
; %bb.28:
	s_waitcnt lgkmcnt(0)
	v_add_f64 v[1:2], v[1:2], v[3:4]
.LBB4_29:
	s_or_b64 exec, exec, s[0:1]
	v_cmp_gt_u32_e32 vcc, 56, v7
	s_waitcnt lgkmcnt(1)
	v_cndmask_b32_e64 v3, 0, 1, vcc
	v_lshlrev_b32_e32 v3, 3, v3
	s_waitcnt lgkmcnt(0)
	v_add_lshl_u32 v4, v3, v5, 2
	ds_bpermute_b32 v3, v4, v1
	ds_bpermute_b32 v4, v4, v2
	v_add_u32_e32 v8, 8, v5
	v_cmp_lt_u32_e32 vcc, v8, v6
	s_and_saveexec_b64 s[0:1], vcc
	s_cbranch_execz .LBB4_31
; %bb.30:
	s_waitcnt lgkmcnt(0)
	v_add_f64 v[1:2], v[1:2], v[3:4]
.LBB4_31:
	s_or_b64 exec, exec, s[0:1]
	v_cmp_gt_u32_e32 vcc, 48, v7
	s_waitcnt lgkmcnt(1)
	v_cndmask_b32_e64 v3, 0, 1, vcc
	v_lshlrev_b32_e32 v3, 4, v3
	s_waitcnt lgkmcnt(0)
	v_add_lshl_u32 v4, v3, v5, 2
	ds_bpermute_b32 v3, v4, v1
	ds_bpermute_b32 v4, v4, v2
	v_add_u32_e32 v8, 16, v5
	v_cmp_lt_u32_e32 vcc, v8, v6
	s_and_saveexec_b64 s[0:1], vcc
	s_cbranch_execz .LBB4_33
; %bb.32:
	s_waitcnt lgkmcnt(0)
	v_add_f64 v[1:2], v[1:2], v[3:4]
.LBB4_33:
	s_or_b64 exec, exec, s[0:1]
	v_cmp_gt_u32_e32 vcc, 32, v7
	s_waitcnt lgkmcnt(1)
	v_cndmask_b32_e64 v3, 0, 1, vcc
	v_lshlrev_b32_e32 v3, 5, v3
	s_waitcnt lgkmcnt(0)
	v_add_lshl_u32 v4, v3, v5, 2
	ds_bpermute_b32 v3, v4, v1
	ds_bpermute_b32 v4, v4, v2
	v_add_u32_e32 v7, 32, v5
	v_cmp_lt_u32_e32 vcc, v7, v6
	s_waitcnt lgkmcnt(0)
	v_add_f64 v[3:4], v[1:2], v[3:4]
	v_cndmask_b32_e32 v2, v2, v4, vcc
	v_cndmask_b32_e32 v1, v1, v3, vcc
	v_cmp_eq_u32_e32 vcc, 0, v5
	s_and_saveexec_b64 s[0:1], vcc
	s_cbranch_execz .LBB4_35
; %bb.34:
	v_lshrrev_b32_e32 v3, 3, v0
	v_and_b32_e32 v3, 8, v3
	ds_write_b64 v3, v[1:2] offset:16
.LBB4_35:
	s_or_b64 exec, exec, s[0:1]
	v_cmp_gt_u32_e32 vcc, 2, v0
	s_waitcnt lgkmcnt(0)
	s_barrier
	s_and_saveexec_b64 s[0:1], vcc
	s_cbranch_execz .LBB4_37
; %bb.36:
	v_lshlrev_b32_e32 v1, 3, v5
	ds_read_b64 v[1:2], v1 offset:16
	v_lshl_or_b32 v4, v5, 2, 4
	s_add_i32 s2, s2, 63
	v_and_b32_e32 v5, 1, v5
	s_lshr_b32 s2, s2, 6
	s_waitcnt lgkmcnt(0)
	ds_bpermute_b32 v3, v4, v1
	ds_bpermute_b32 v4, v4, v2
	v_add_u32_e32 v5, 1, v5
	v_cmp_gt_u32_e32 vcc, s2, v5
	s_waitcnt lgkmcnt(0)
	v_add_f64 v[3:4], v[1:2], v[3:4]
	v_cndmask_b32_e32 v2, v2, v4, vcc
	v_cndmask_b32_e32 v1, v1, v3, vcc
.LBB4_37:
	s_or_b64 exec, exec, s[0:1]
.LBB4_38:
	v_cmp_eq_u32_e32 vcc, 0, v0
	s_and_saveexec_b64 s[0:1], vcc
	s_cbranch_execnz .LBB4_40
; %bb.39:
	s_endpgm
.LBB4_40:
	v_add_f64 v[0:1], v[1:2], s[22:23]
	s_lshl_b64 s[0:1], s[6:7], 3
	s_add_u32 s0, s20, s0
	s_addc_u32 s1, s21, s1
	s_cmp_eq_u64 s[18:19], 0
	v_mov_b32_e32 v3, s23
	s_cselect_b64 vcc, -1, 0
	v_mov_b32_e32 v2, 0
	v_cndmask_b32_e32 v1, v1, v3, vcc
	v_mov_b32_e32 v3, s22
	v_cndmask_b32_e32 v0, v0, v3, vcc
	global_store_dwordx2 v2, v[0:1], s[0:1]
	s_endpgm
	.section	.rodata,"a",@progbits
	.p2align	6, 0x0
	.amdhsa_kernel _ZN7rocprim6detail19block_reduce_kernelILb1ELb1ELj2ENS0_21wrapped_reduce_configINS_14default_configEdEEdPdS5_dN6thrust4plusIdEEEEvT4_mT5_T6_T7_
		.amdhsa_group_segment_fixed_size 32
		.amdhsa_private_segment_fixed_size 0
		.amdhsa_kernarg_size 36
		.amdhsa_user_sgpr_count 6
		.amdhsa_user_sgpr_private_segment_buffer 1
		.amdhsa_user_sgpr_dispatch_ptr 0
		.amdhsa_user_sgpr_queue_ptr 0
		.amdhsa_user_sgpr_kernarg_segment_ptr 1
		.amdhsa_user_sgpr_dispatch_id 0
		.amdhsa_user_sgpr_flat_scratch_init 0
		.amdhsa_user_sgpr_private_segment_size 0
		.amdhsa_uses_dynamic_stack 0
		.amdhsa_system_sgpr_private_segment_wavefront_offset 0
		.amdhsa_system_sgpr_workgroup_id_x 1
		.amdhsa_system_sgpr_workgroup_id_y 0
		.amdhsa_system_sgpr_workgroup_id_z 0
		.amdhsa_system_sgpr_workgroup_info 0
		.amdhsa_system_vgpr_workitem_id 0
		.amdhsa_next_free_vgpr 22
		.amdhsa_next_free_sgpr 25
		.amdhsa_reserve_vcc 1
		.amdhsa_reserve_flat_scratch 0
		.amdhsa_float_round_mode_32 0
		.amdhsa_float_round_mode_16_64 0
		.amdhsa_float_denorm_mode_32 3
		.amdhsa_float_denorm_mode_16_64 3
		.amdhsa_dx10_clamp 1
		.amdhsa_ieee_mode 1
		.amdhsa_fp16_overflow 0
		.amdhsa_exception_fp_ieee_invalid_op 0
		.amdhsa_exception_fp_denorm_src 0
		.amdhsa_exception_fp_ieee_div_zero 0
		.amdhsa_exception_fp_ieee_overflow 0
		.amdhsa_exception_fp_ieee_underflow 0
		.amdhsa_exception_fp_ieee_inexact 0
		.amdhsa_exception_int_div_zero 0
	.end_amdhsa_kernel
	.section	.text._ZN7rocprim6detail19block_reduce_kernelILb1ELb1ELj2ENS0_21wrapped_reduce_configINS_14default_configEdEEdPdS5_dN6thrust4plusIdEEEEvT4_mT5_T6_T7_,"axG",@progbits,_ZN7rocprim6detail19block_reduce_kernelILb1ELb1ELj2ENS0_21wrapped_reduce_configINS_14default_configEdEEdPdS5_dN6thrust4plusIdEEEEvT4_mT5_T6_T7_,comdat
.Lfunc_end4:
	.size	_ZN7rocprim6detail19block_reduce_kernelILb1ELb1ELj2ENS0_21wrapped_reduce_configINS_14default_configEdEEdPdS5_dN6thrust4plusIdEEEEvT4_mT5_T6_T7_, .Lfunc_end4-_ZN7rocprim6detail19block_reduce_kernelILb1ELb1ELj2ENS0_21wrapped_reduce_configINS_14default_configEdEEdPdS5_dN6thrust4plusIdEEEEvT4_mT5_T6_T7_
                                        ; -- End function
	.section	.AMDGPU.csdata,"",@progbits
; Kernel info:
; codeLenInByte = 1756
; NumSgprs: 29
; NumVgprs: 22
; ScratchSize: 0
; MemoryBound: 1
; FloatMode: 240
; IeeeMode: 1
; LDSByteSize: 32 bytes/workgroup (compile time only)
; SGPRBlocks: 3
; VGPRBlocks: 5
; NumSGPRsForWavesPerEU: 29
; NumVGPRsForWavesPerEU: 22
; Occupancy: 8
; WaveLimiterHint : 1
; COMPUTE_PGM_RSRC2:SCRATCH_EN: 0
; COMPUTE_PGM_RSRC2:USER_SGPR: 6
; COMPUTE_PGM_RSRC2:TRAP_HANDLER: 0
; COMPUTE_PGM_RSRC2:TGID_X_EN: 1
; COMPUTE_PGM_RSRC2:TGID_Y_EN: 0
; COMPUTE_PGM_RSRC2:TGID_Z_EN: 0
; COMPUTE_PGM_RSRC2:TIDIG_COMP_CNT: 0
	.section	.text._ZN7rocprim6detail19block_reduce_kernelILb1ELb1ELj4ENS0_21wrapped_reduce_configINS_14default_configEdEEdPdS5_dN6thrust4plusIdEEEEvT4_mT5_T6_T7_,"axG",@progbits,_ZN7rocprim6detail19block_reduce_kernelILb1ELb1ELj4ENS0_21wrapped_reduce_configINS_14default_configEdEEdPdS5_dN6thrust4plusIdEEEEvT4_mT5_T6_T7_,comdat
	.protected	_ZN7rocprim6detail19block_reduce_kernelILb1ELb1ELj4ENS0_21wrapped_reduce_configINS_14default_configEdEEdPdS5_dN6thrust4plusIdEEEEvT4_mT5_T6_T7_ ; -- Begin function _ZN7rocprim6detail19block_reduce_kernelILb1ELb1ELj4ENS0_21wrapped_reduce_configINS_14default_configEdEEdPdS5_dN6thrust4plusIdEEEEvT4_mT5_T6_T7_
	.globl	_ZN7rocprim6detail19block_reduce_kernelILb1ELb1ELj4ENS0_21wrapped_reduce_configINS_14default_configEdEEdPdS5_dN6thrust4plusIdEEEEvT4_mT5_T6_T7_
	.p2align	8
	.type	_ZN7rocprim6detail19block_reduce_kernelILb1ELb1ELj4ENS0_21wrapped_reduce_configINS_14default_configEdEEdPdS5_dN6thrust4plusIdEEEEvT4_mT5_T6_T7_,@function
_ZN7rocprim6detail19block_reduce_kernelILb1ELb1ELj4ENS0_21wrapped_reduce_configINS_14default_configEdEEdPdS5_dN6thrust4plusIdEEEEvT4_mT5_T6_T7_: ; @_ZN7rocprim6detail19block_reduce_kernelILb1ELb1ELj4ENS0_21wrapped_reduce_configINS_14default_configEdEEdPdS5_dN6thrust4plusIdEEEEvT4_mT5_T6_T7_
; %bb.0:
	s_load_dwordx8 s[36:43], s[4:5], 0x0
	s_lshl_b32 s0, s6, 11
	s_mov_b32 s1, 0
	s_lshl_b64 s[4:5], s[0:1], 3
	s_mov_b32 s7, s1
	s_waitcnt lgkmcnt(0)
	s_lshr_b64 s[2:3], s[38:39], 11
	s_add_u32 s1, s36, s4
	s_addc_u32 s4, s37, s5
	v_lshlrev_b32_e32 v1, 3, v0
	v_mov_b32_e32 v2, s4
	v_add_co_u32_e32 v1, vcc, s1, v1
	s_cmp_lg_u64 s[2:3], s[6:7]
	v_addc_co_u32_e32 v2, vcc, 0, v2, vcc
	v_mbcnt_lo_u32_b32 v35, -1, 0
	s_cbranch_scc0 .LBB5_6
; %bb.1:
	global_load_dwordx2 v[3:4], v[1:2], off
	global_load_dwordx2 v[5:6], v[1:2], off offset:1024
	global_load_dwordx2 v[7:8], v[1:2], off offset:2048
	;; [unrolled: 1-line block ×3, first 2 shown]
	v_add_co_u32_e32 v11, vcc, 0x1000, v1
	v_addc_co_u32_e32 v12, vcc, 0, v2, vcc
	global_load_dwordx2 v[13:14], v[11:12], off
	global_load_dwordx2 v[15:16], v[11:12], off offset:1024
	global_load_dwordx2 v[17:18], v[11:12], off offset:2048
	;; [unrolled: 1-line block ×3, first 2 shown]
	v_add_co_u32_e32 v11, vcc, 0x2000, v1
	v_addc_co_u32_e32 v12, vcc, 0, v2, vcc
	global_load_dwordx2 v[21:22], v[11:12], off
	global_load_dwordx2 v[23:24], v[11:12], off offset:1024
	global_load_dwordx2 v[25:26], v[11:12], off offset:2048
	s_waitcnt vmcnt(9)
	v_add_f64 v[3:4], v[3:4], v[5:6]
	global_load_dwordx2 v[5:6], v[11:12], off offset:3072
	v_add_co_u32_e32 v11, vcc, 0x3000, v1
	v_addc_co_u32_e32 v12, vcc, 0, v2, vcc
	s_waitcnt vmcnt(9)
	v_add_f64 v[3:4], v[3:4], v[7:8]
	global_load_dwordx2 v[7:8], v[11:12], off
	s_waitcnt vmcnt(9)
	v_add_f64 v[3:4], v[3:4], v[9:10]
	global_load_dwordx2 v[9:10], v[11:12], off offset:1024
	s_waitcnt vmcnt(9)
	v_add_f64 v[3:4], v[3:4], v[13:14]
	global_load_dwordx2 v[13:14], v[11:12], off offset:2048
	global_load_dwordx2 v[27:28], v[11:12], off offset:3072
	s_waitcnt vmcnt(10)
	v_add_f64 v[3:4], v[3:4], v[15:16]
	s_waitcnt vmcnt(9)
	v_add_f64 v[3:4], v[3:4], v[17:18]
	;; [unrolled: 2-line block ×11, first 2 shown]
	s_nop 1
	v_mov_b32_dpp v5, v3 quad_perm:[1,0,3,2] row_mask:0xf bank_mask:0xf
	v_mov_b32_dpp v6, v4 quad_perm:[1,0,3,2] row_mask:0xf bank_mask:0xf
	v_add_f64 v[3:4], v[3:4], v[5:6]
	s_nop 1
	v_mov_b32_dpp v5, v3 quad_perm:[2,3,0,1] row_mask:0xf bank_mask:0xf
	v_mov_b32_dpp v6, v4 quad_perm:[2,3,0,1] row_mask:0xf bank_mask:0xf
	v_add_f64 v[3:4], v[3:4], v[5:6]
	s_nop 1
	v_mov_b32_dpp v5, v3 row_ror:4 row_mask:0xf bank_mask:0xf
	v_mov_b32_dpp v6, v4 row_ror:4 row_mask:0xf bank_mask:0xf
	v_add_f64 v[3:4], v[3:4], v[5:6]
	s_nop 1
	v_mov_b32_dpp v5, v3 row_ror:8 row_mask:0xf bank_mask:0xf
	v_mov_b32_dpp v6, v4 row_ror:8 row_mask:0xf bank_mask:0xf
	v_add_f64 v[3:4], v[3:4], v[5:6]
	s_nop 1
	v_mov_b32_dpp v5, v3 row_bcast:15 row_mask:0xf bank_mask:0xf
	v_mov_b32_dpp v6, v4 row_bcast:15 row_mask:0xf bank_mask:0xf
	v_add_f64 v[3:4], v[3:4], v[5:6]
	s_nop 1
	v_mov_b32_dpp v5, v3 row_bcast:31 row_mask:0xf bank_mask:0xf
	v_mov_b32_dpp v6, v4 row_bcast:31 row_mask:0xf bank_mask:0xf
	v_add_f64 v[3:4], v[3:4], v[5:6]
	v_mbcnt_hi_u32_b32 v6, -1, v35
	v_lshlrev_b32_e32 v5, 2, v6
	v_or_b32_e32 v7, 0xfc, v5
	v_cmp_eq_u32_e32 vcc, 0, v6
	ds_bpermute_b32 v3, v7, v3
	ds_bpermute_b32 v4, v7, v4
	s_and_saveexec_b64 s[2:3], vcc
	s_cbranch_execz .LBB5_3
; %bb.2:
	v_lshrrev_b32_e32 v7, 3, v0
	v_and_b32_e32 v7, 8, v7
	s_waitcnt lgkmcnt(0)
	ds_write_b64 v7, v[3:4]
.LBB5_3:
	s_or_b64 exec, exec, s[2:3]
	v_cmp_gt_u32_e32 vcc, 64, v0
	s_waitcnt lgkmcnt(0)
	s_barrier
	s_and_saveexec_b64 s[2:3], vcc
	s_cbranch_execz .LBB5_5
; %bb.4:
	v_and_b32_e32 v3, 1, v6
	v_lshlrev_b32_e32 v3, 3, v3
	ds_read_b64 v[3:4], v3
	v_or_b32_e32 v6, 4, v5
	s_waitcnt lgkmcnt(0)
	ds_bpermute_b32 v5, v6, v3
	ds_bpermute_b32 v6, v6, v4
	s_waitcnt lgkmcnt(0)
	v_add_f64 v[3:4], v[3:4], v[5:6]
.LBB5_5:
	s_or_b64 exec, exec, s[2:3]
	s_branch .LBB5_54
.LBB5_6:
                                        ; implicit-def: $vgpr3_vgpr4
	s_cbranch_execz .LBB5_54
; %bb.7:
	s_sub_i32 s33, s38, s0
	v_cmp_gt_u32_e32 vcc, s33, v0
                                        ; implicit-def: $vgpr3_vgpr4
	s_and_saveexec_b64 s[0:1], vcc
	s_cbranch_execz .LBB5_9
; %bb.8:
	global_load_dwordx2 v[3:4], v[1:2], off
.LBB5_9:
	s_or_b64 exec, exec, s[0:1]
	v_or_b32_e32 v5, 0x80, v0
	v_cmp_gt_u32_e64 s[0:1], s33, v5
                                        ; implicit-def: $vgpr5_vgpr6
	s_and_saveexec_b64 s[2:3], s[0:1]
	s_cbranch_execz .LBB5_11
; %bb.10:
	global_load_dwordx2 v[5:6], v[1:2], off offset:1024
.LBB5_11:
	s_or_b64 exec, exec, s[2:3]
	v_or_b32_e32 v7, 0x100, v0
	v_cmp_gt_u32_e64 s[2:3], s33, v7
                                        ; implicit-def: $vgpr7_vgpr8
	s_and_saveexec_b64 s[4:5], s[2:3]
	s_cbranch_execz .LBB5_13
; %bb.12:
	global_load_dwordx2 v[7:8], v[1:2], off offset:2048
.LBB5_13:
	s_or_b64 exec, exec, s[4:5]
	v_or_b32_e32 v9, 0x180, v0
	v_cmp_gt_u32_e64 s[4:5], s33, v9
                                        ; implicit-def: $vgpr9_vgpr10
	s_and_saveexec_b64 s[8:9], s[4:5]
	s_cbranch_execz .LBB5_15
; %bb.14:
	global_load_dwordx2 v[9:10], v[1:2], off offset:3072
.LBB5_15:
	s_or_b64 exec, exec, s[8:9]
	v_or_b32_e32 v11, 0x200, v0
	v_cmp_gt_u32_e64 s[8:9], s33, v11
                                        ; implicit-def: $vgpr11_vgpr12
	s_and_saveexec_b64 s[10:11], s[8:9]
	s_cbranch_execz .LBB5_17
; %bb.16:
	v_add_co_u32_e32 v11, vcc, 0x1000, v1
	v_addc_co_u32_e32 v12, vcc, 0, v2, vcc
	global_load_dwordx2 v[11:12], v[11:12], off
.LBB5_17:
	s_or_b64 exec, exec, s[10:11]
	v_or_b32_e32 v13, 0x280, v0
	v_cmp_gt_u32_e64 s[10:11], s33, v13
                                        ; implicit-def: $vgpr13_vgpr14
	s_and_saveexec_b64 s[12:13], s[10:11]
	s_cbranch_execz .LBB5_19
; %bb.18:
	v_add_co_u32_e32 v13, vcc, 0x1000, v1
	v_addc_co_u32_e32 v14, vcc, 0, v2, vcc
	global_load_dwordx2 v[13:14], v[13:14], off offset:1024
.LBB5_19:
	s_or_b64 exec, exec, s[12:13]
	v_or_b32_e32 v15, 0x300, v0
	v_cmp_gt_u32_e64 s[12:13], s33, v15
                                        ; implicit-def: $vgpr15_vgpr16
	s_and_saveexec_b64 s[14:15], s[12:13]
	s_cbranch_execz .LBB5_21
; %bb.20:
	v_add_co_u32_e32 v15, vcc, 0x1000, v1
	v_addc_co_u32_e32 v16, vcc, 0, v2, vcc
	global_load_dwordx2 v[15:16], v[15:16], off offset:2048
.LBB5_21:
	s_or_b64 exec, exec, s[14:15]
	v_or_b32_e32 v17, 0x380, v0
	v_cmp_gt_u32_e64 s[14:15], s33, v17
                                        ; implicit-def: $vgpr17_vgpr18
	s_and_saveexec_b64 s[16:17], s[14:15]
	s_cbranch_execz .LBB5_23
; %bb.22:
	v_add_co_u32_e32 v17, vcc, 0x1000, v1
	v_addc_co_u32_e32 v18, vcc, 0, v2, vcc
	global_load_dwordx2 v[17:18], v[17:18], off offset:3072
.LBB5_23:
	s_or_b64 exec, exec, s[16:17]
	v_or_b32_e32 v19, 0x400, v0
	v_cmp_gt_u32_e64 s[16:17], s33, v19
                                        ; implicit-def: $vgpr19_vgpr20
	s_and_saveexec_b64 s[18:19], s[16:17]
	s_cbranch_execz .LBB5_25
; %bb.24:
	v_add_co_u32_e32 v19, vcc, 0x2000, v1
	v_addc_co_u32_e32 v20, vcc, 0, v2, vcc
	global_load_dwordx2 v[19:20], v[19:20], off
.LBB5_25:
	s_or_b64 exec, exec, s[18:19]
	v_or_b32_e32 v21, 0x480, v0
	v_cmp_gt_u32_e64 s[18:19], s33, v21
                                        ; implicit-def: $vgpr21_vgpr22
	s_and_saveexec_b64 s[20:21], s[18:19]
	s_cbranch_execz .LBB5_27
; %bb.26:
	v_add_co_u32_e32 v21, vcc, 0x2000, v1
	v_addc_co_u32_e32 v22, vcc, 0, v2, vcc
	global_load_dwordx2 v[21:22], v[21:22], off offset:1024
.LBB5_27:
	s_or_b64 exec, exec, s[20:21]
	v_or_b32_e32 v23, 0x500, v0
	v_cmp_gt_u32_e64 s[20:21], s33, v23
                                        ; implicit-def: $vgpr23_vgpr24
	s_and_saveexec_b64 s[22:23], s[20:21]
	s_cbranch_execz .LBB5_29
; %bb.28:
	v_add_co_u32_e32 v23, vcc, 0x2000, v1
	v_addc_co_u32_e32 v24, vcc, 0, v2, vcc
	global_load_dwordx2 v[23:24], v[23:24], off offset:2048
.LBB5_29:
	s_or_b64 exec, exec, s[22:23]
	v_or_b32_e32 v25, 0x580, v0
	v_cmp_gt_u32_e64 s[22:23], s33, v25
                                        ; implicit-def: $vgpr25_vgpr26
	s_and_saveexec_b64 s[24:25], s[22:23]
	s_cbranch_execz .LBB5_31
; %bb.30:
	v_add_co_u32_e32 v25, vcc, 0x2000, v1
	v_addc_co_u32_e32 v26, vcc, 0, v2, vcc
	global_load_dwordx2 v[25:26], v[25:26], off offset:3072
.LBB5_31:
	s_or_b64 exec, exec, s[24:25]
	v_or_b32_e32 v27, 0x600, v0
	v_cmp_gt_u32_e64 s[24:25], s33, v27
                                        ; implicit-def: $vgpr27_vgpr28
	s_and_saveexec_b64 s[26:27], s[24:25]
	s_cbranch_execz .LBB5_33
; %bb.32:
	v_add_co_u32_e32 v27, vcc, 0x3000, v1
	v_addc_co_u32_e32 v28, vcc, 0, v2, vcc
	global_load_dwordx2 v[27:28], v[27:28], off
.LBB5_33:
	s_or_b64 exec, exec, s[26:27]
	v_or_b32_e32 v29, 0x680, v0
	v_cmp_gt_u32_e64 s[26:27], s33, v29
                                        ; implicit-def: $vgpr29_vgpr30
	s_and_saveexec_b64 s[28:29], s[26:27]
	s_cbranch_execz .LBB5_35
; %bb.34:
	v_add_co_u32_e32 v29, vcc, 0x3000, v1
	v_addc_co_u32_e32 v30, vcc, 0, v2, vcc
	global_load_dwordx2 v[29:30], v[29:30], off offset:1024
.LBB5_35:
	s_or_b64 exec, exec, s[28:29]
	v_or_b32_e32 v31, 0x700, v0
	v_cmp_gt_u32_e64 s[28:29], s33, v31
                                        ; implicit-def: $vgpr31_vgpr32
	s_and_saveexec_b64 s[30:31], s[28:29]
	s_cbranch_execz .LBB5_37
; %bb.36:
	v_add_co_u32_e32 v31, vcc, 0x3000, v1
	v_addc_co_u32_e32 v32, vcc, 0, v2, vcc
	global_load_dwordx2 v[31:32], v[31:32], off offset:2048
.LBB5_37:
	s_or_b64 exec, exec, s[30:31]
	v_or_b32_e32 v33, 0x780, v0
	v_cmp_gt_u32_e64 s[30:31], s33, v33
                                        ; implicit-def: $vgpr33_vgpr34
	s_and_saveexec_b64 s[34:35], s[30:31]
	s_cbranch_execz .LBB5_39
; %bb.38:
	v_add_co_u32_e32 v1, vcc, 0x3000, v1
	v_addc_co_u32_e32 v2, vcc, 0, v2, vcc
	global_load_dwordx2 v[33:34], v[1:2], off offset:3072
.LBB5_39:
	s_or_b64 exec, exec, s[34:35]
	s_waitcnt vmcnt(0)
	v_add_f64 v[1:2], v[3:4], v[5:6]
	v_mbcnt_hi_u32_b32 v5, -1, v35
	v_cndmask_b32_e64 v2, v4, v2, s[0:1]
	v_cndmask_b32_e64 v1, v3, v1, s[0:1]
	v_add_f64 v[3:4], v[1:2], v[7:8]
	v_and_b32_e32 v7, 63, v5
	v_cmp_ne_u32_e32 vcc, 63, v7
	v_addc_co_u32_e32 v6, vcc, 0, v5, vcc
	v_lshlrev_b32_e32 v6, 2, v6
	v_add_u32_e32 v8, 1, v5
	v_cndmask_b32_e64 v2, v2, v4, s[2:3]
	v_cndmask_b32_e64 v1, v1, v3, s[2:3]
	v_add_f64 v[3:4], v[1:2], v[9:10]
	s_min_u32 s2, s33, 0x80
	v_cndmask_b32_e64 v2, v2, v4, s[4:5]
	v_cndmask_b32_e64 v1, v1, v3, s[4:5]
	v_add_f64 v[3:4], v[1:2], v[11:12]
	v_cndmask_b32_e64 v2, v2, v4, s[8:9]
	v_cndmask_b32_e64 v1, v1, v3, s[8:9]
	v_add_f64 v[3:4], v[1:2], v[13:14]
	;; [unrolled: 3-line block ×12, first 2 shown]
	v_cndmask_b32_e64 v2, v2, v4, s[30:31]
	v_cndmask_b32_e64 v1, v1, v3, s[30:31]
	ds_bpermute_b32 v3, v6, v1
	ds_bpermute_b32 v4, v6, v2
	v_and_b32_e32 v6, 64, v0
	v_sub_u32_e64 v6, s2, v6 clamp
	v_cmp_lt_u32_e32 vcc, v8, v6
	s_and_saveexec_b64 s[0:1], vcc
	s_cbranch_execz .LBB5_41
; %bb.40:
	s_waitcnt lgkmcnt(0)
	v_add_f64 v[1:2], v[1:2], v[3:4]
.LBB5_41:
	s_or_b64 exec, exec, s[0:1]
	v_cmp_gt_u32_e32 vcc, 62, v7
	s_waitcnt lgkmcnt(1)
	v_cndmask_b32_e64 v3, 0, 1, vcc
	v_lshlrev_b32_e32 v3, 1, v3
	s_waitcnt lgkmcnt(0)
	v_add_lshl_u32 v4, v3, v5, 2
	ds_bpermute_b32 v3, v4, v1
	ds_bpermute_b32 v4, v4, v2
	v_add_u32_e32 v8, 2, v5
	v_cmp_lt_u32_e32 vcc, v8, v6
	s_and_saveexec_b64 s[0:1], vcc
	s_cbranch_execz .LBB5_43
; %bb.42:
	s_waitcnt lgkmcnt(0)
	v_add_f64 v[1:2], v[1:2], v[3:4]
.LBB5_43:
	s_or_b64 exec, exec, s[0:1]
	v_cmp_gt_u32_e32 vcc, 60, v7
	s_waitcnt lgkmcnt(1)
	v_cndmask_b32_e64 v3, 0, 1, vcc
	v_lshlrev_b32_e32 v3, 2, v3
	s_waitcnt lgkmcnt(0)
	v_add_lshl_u32 v4, v3, v5, 2
	ds_bpermute_b32 v3, v4, v1
	ds_bpermute_b32 v4, v4, v2
	v_add_u32_e32 v8, 4, v5
	;; [unrolled: 17-line block ×5, first 2 shown]
	v_cmp_lt_u32_e32 vcc, v7, v6
	s_waitcnt lgkmcnt(0)
	v_add_f64 v[3:4], v[1:2], v[3:4]
	v_cndmask_b32_e32 v4, v2, v4, vcc
	v_cndmask_b32_e32 v3, v1, v3, vcc
	v_cmp_eq_u32_e32 vcc, 0, v5
	s_and_saveexec_b64 s[0:1], vcc
	s_cbranch_execz .LBB5_51
; %bb.50:
	v_lshrrev_b32_e32 v1, 3, v0
	v_and_b32_e32 v1, 8, v1
	ds_write_b64 v1, v[3:4] offset:16
.LBB5_51:
	s_or_b64 exec, exec, s[0:1]
	v_cmp_gt_u32_e32 vcc, 2, v0
	s_waitcnt lgkmcnt(0)
	s_barrier
	s_and_saveexec_b64 s[0:1], vcc
	s_cbranch_execz .LBB5_53
; %bb.52:
	v_lshlrev_b32_e32 v1, 3, v5
	ds_read_b64 v[1:2], v1 offset:16
	v_lshl_or_b32 v4, v5, 2, 4
	s_add_i32 s2, s2, 63
	v_and_b32_e32 v5, 1, v5
	s_lshr_b32 s2, s2, 6
	s_waitcnt lgkmcnt(0)
	ds_bpermute_b32 v3, v4, v1
	ds_bpermute_b32 v4, v4, v2
	v_add_u32_e32 v5, 1, v5
	v_cmp_gt_u32_e32 vcc, s2, v5
	s_waitcnt lgkmcnt(0)
	v_add_f64 v[3:4], v[1:2], v[3:4]
	v_cndmask_b32_e32 v4, v2, v4, vcc
	v_cndmask_b32_e32 v3, v1, v3, vcc
.LBB5_53:
	s_or_b64 exec, exec, s[0:1]
.LBB5_54:
	v_cmp_eq_u32_e32 vcc, 0, v0
	s_and_saveexec_b64 s[0:1], vcc
	s_cbranch_execnz .LBB5_56
; %bb.55:
	s_endpgm
.LBB5_56:
	v_add_f64 v[0:1], v[3:4], s[42:43]
	s_lshl_b64 s[0:1], s[6:7], 3
	s_add_u32 s0, s40, s0
	s_addc_u32 s1, s41, s1
	s_cmp_eq_u64 s[38:39], 0
	v_mov_b32_e32 v3, s43
	s_cselect_b64 vcc, -1, 0
	v_mov_b32_e32 v2, 0
	v_cndmask_b32_e32 v1, v1, v3, vcc
	v_mov_b32_e32 v3, s42
	v_cndmask_b32_e32 v0, v0, v3, vcc
	global_store_dwordx2 v2, v[0:1], s[0:1]
	s_endpgm
	.section	.rodata,"a",@progbits
	.p2align	6, 0x0
	.amdhsa_kernel _ZN7rocprim6detail19block_reduce_kernelILb1ELb1ELj4ENS0_21wrapped_reduce_configINS_14default_configEdEEdPdS5_dN6thrust4plusIdEEEEvT4_mT5_T6_T7_
		.amdhsa_group_segment_fixed_size 32
		.amdhsa_private_segment_fixed_size 0
		.amdhsa_kernarg_size 36
		.amdhsa_user_sgpr_count 6
		.amdhsa_user_sgpr_private_segment_buffer 1
		.amdhsa_user_sgpr_dispatch_ptr 0
		.amdhsa_user_sgpr_queue_ptr 0
		.amdhsa_user_sgpr_kernarg_segment_ptr 1
		.amdhsa_user_sgpr_dispatch_id 0
		.amdhsa_user_sgpr_flat_scratch_init 0
		.amdhsa_user_sgpr_private_segment_size 0
		.amdhsa_uses_dynamic_stack 0
		.amdhsa_system_sgpr_private_segment_wavefront_offset 0
		.amdhsa_system_sgpr_workgroup_id_x 1
		.amdhsa_system_sgpr_workgroup_id_y 0
		.amdhsa_system_sgpr_workgroup_id_z 0
		.amdhsa_system_sgpr_workgroup_info 0
		.amdhsa_system_vgpr_workitem_id 0
		.amdhsa_next_free_vgpr 36
		.amdhsa_next_free_sgpr 44
		.amdhsa_reserve_vcc 1
		.amdhsa_reserve_flat_scratch 0
		.amdhsa_float_round_mode_32 0
		.amdhsa_float_round_mode_16_64 0
		.amdhsa_float_denorm_mode_32 3
		.amdhsa_float_denorm_mode_16_64 3
		.amdhsa_dx10_clamp 1
		.amdhsa_ieee_mode 1
		.amdhsa_fp16_overflow 0
		.amdhsa_exception_fp_ieee_invalid_op 0
		.amdhsa_exception_fp_denorm_src 0
		.amdhsa_exception_fp_ieee_div_zero 0
		.amdhsa_exception_fp_ieee_overflow 0
		.amdhsa_exception_fp_ieee_underflow 0
		.amdhsa_exception_fp_ieee_inexact 0
		.amdhsa_exception_int_div_zero 0
	.end_amdhsa_kernel
	.section	.text._ZN7rocprim6detail19block_reduce_kernelILb1ELb1ELj4ENS0_21wrapped_reduce_configINS_14default_configEdEEdPdS5_dN6thrust4plusIdEEEEvT4_mT5_T6_T7_,"axG",@progbits,_ZN7rocprim6detail19block_reduce_kernelILb1ELb1ELj4ENS0_21wrapped_reduce_configINS_14default_configEdEEdPdS5_dN6thrust4plusIdEEEEvT4_mT5_T6_T7_,comdat
.Lfunc_end5:
	.size	_ZN7rocprim6detail19block_reduce_kernelILb1ELb1ELj4ENS0_21wrapped_reduce_configINS_14default_configEdEEdPdS5_dN6thrust4plusIdEEEEvT4_mT5_T6_T7_, .Lfunc_end5-_ZN7rocprim6detail19block_reduce_kernelILb1ELb1ELj4ENS0_21wrapped_reduce_configINS_14default_configEdEEdPdS5_dN6thrust4plusIdEEEEvT4_mT5_T6_T7_
                                        ; -- End function
	.section	.AMDGPU.csdata,"",@progbits
; Kernel info:
; codeLenInByte = 2516
; NumSgprs: 48
; NumVgprs: 36
; ScratchSize: 0
; MemoryBound: 0
; FloatMode: 240
; IeeeMode: 1
; LDSByteSize: 32 bytes/workgroup (compile time only)
; SGPRBlocks: 5
; VGPRBlocks: 8
; NumSGPRsForWavesPerEU: 48
; NumVGPRsForWavesPerEU: 36
; Occupancy: 7
; WaveLimiterHint : 1
; COMPUTE_PGM_RSRC2:SCRATCH_EN: 0
; COMPUTE_PGM_RSRC2:USER_SGPR: 6
; COMPUTE_PGM_RSRC2:TRAP_HANDLER: 0
; COMPUTE_PGM_RSRC2:TGID_X_EN: 1
; COMPUTE_PGM_RSRC2:TGID_Y_EN: 0
; COMPUTE_PGM_RSRC2:TGID_Z_EN: 0
; COMPUTE_PGM_RSRC2:TIDIG_COMP_CNT: 0
	.section	.text._ZN7rocprim6detail19block_reduce_kernelILb1ELb1ELj8ENS0_21wrapped_reduce_configINS_14default_configEdEEdPdS5_dN6thrust4plusIdEEEEvT4_mT5_T6_T7_,"axG",@progbits,_ZN7rocprim6detail19block_reduce_kernelILb1ELb1ELj8ENS0_21wrapped_reduce_configINS_14default_configEdEEdPdS5_dN6thrust4plusIdEEEEvT4_mT5_T6_T7_,comdat
	.protected	_ZN7rocprim6detail19block_reduce_kernelILb1ELb1ELj8ENS0_21wrapped_reduce_configINS_14default_configEdEEdPdS5_dN6thrust4plusIdEEEEvT4_mT5_T6_T7_ ; -- Begin function _ZN7rocprim6detail19block_reduce_kernelILb1ELb1ELj8ENS0_21wrapped_reduce_configINS_14default_configEdEEdPdS5_dN6thrust4plusIdEEEEvT4_mT5_T6_T7_
	.globl	_ZN7rocprim6detail19block_reduce_kernelILb1ELb1ELj8ENS0_21wrapped_reduce_configINS_14default_configEdEEdPdS5_dN6thrust4plusIdEEEEvT4_mT5_T6_T7_
	.p2align	8
	.type	_ZN7rocprim6detail19block_reduce_kernelILb1ELb1ELj8ENS0_21wrapped_reduce_configINS_14default_configEdEEdPdS5_dN6thrust4plusIdEEEEvT4_mT5_T6_T7_,@function
_ZN7rocprim6detail19block_reduce_kernelILb1ELb1ELj8ENS0_21wrapped_reduce_configINS_14default_configEdEEdPdS5_dN6thrust4plusIdEEEEvT4_mT5_T6_T7_: ; @_ZN7rocprim6detail19block_reduce_kernelILb1ELb1ELj8ENS0_21wrapped_reduce_configINS_14default_configEdEEdPdS5_dN6thrust4plusIdEEEEvT4_mT5_T6_T7_
; %bb.0:
	s_load_dwordx8 s[64:71], s[4:5], 0x0
	s_lshl_b32 s0, s6, 12
	s_mov_b32 s1, 0
	s_lshl_b64 s[4:5], s[0:1], 3
	s_mov_b32 s7, s1
	s_waitcnt lgkmcnt(0)
	s_lshr_b64 s[2:3], s[66:67], 12
	s_add_u32 s1, s64, s4
	s_addc_u32 s4, s65, s5
	v_lshlrev_b32_e32 v1, 3, v0
	v_mov_b32_e32 v2, s4
	v_add_co_u32_e32 v1, vcc, s1, v1
	s_cmp_lg_u64 s[2:3], s[6:7]
	v_addc_co_u32_e32 v2, vcc, 0, v2, vcc
	v_mbcnt_lo_u32_b32 v67, -1, 0
	s_cbranch_scc0 .LBB6_6
; %bb.1:
	global_load_dwordx2 v[3:4], v[1:2], off
	global_load_dwordx2 v[5:6], v[1:2], off offset:1024
	global_load_dwordx2 v[7:8], v[1:2], off offset:2048
	;; [unrolled: 1-line block ×3, first 2 shown]
	v_add_co_u32_e32 v11, vcc, 0x1000, v1
	v_addc_co_u32_e32 v12, vcc, 0, v2, vcc
	global_load_dwordx2 v[13:14], v[11:12], off
	global_load_dwordx2 v[15:16], v[11:12], off offset:1024
	global_load_dwordx2 v[17:18], v[11:12], off offset:2048
	;; [unrolled: 1-line block ×3, first 2 shown]
	v_add_co_u32_e32 v11, vcc, 0x2000, v1
	v_addc_co_u32_e32 v12, vcc, 0, v2, vcc
	global_load_dwordx2 v[21:22], v[11:12], off
	global_load_dwordx2 v[23:24], v[11:12], off offset:1024
	global_load_dwordx2 v[25:26], v[11:12], off offset:2048
	s_waitcnt vmcnt(9)
	v_add_f64 v[3:4], v[3:4], v[5:6]
	global_load_dwordx2 v[5:6], v[11:12], off offset:3072
	v_add_co_u32_e32 v11, vcc, 0x3000, v1
	v_addc_co_u32_e32 v12, vcc, 0, v2, vcc
	s_waitcnt vmcnt(9)
	v_add_f64 v[3:4], v[3:4], v[7:8]
	global_load_dwordx2 v[7:8], v[11:12], off
	s_waitcnt vmcnt(9)
	v_add_f64 v[3:4], v[3:4], v[9:10]
	global_load_dwordx2 v[9:10], v[11:12], off offset:1024
	s_waitcnt vmcnt(9)
	v_add_f64 v[3:4], v[3:4], v[13:14]
	global_load_dwordx2 v[13:14], v[11:12], off offset:2048
	s_waitcnt vmcnt(9)
	v_add_f64 v[3:4], v[3:4], v[15:16]
	v_add_co_u32_e32 v15, vcc, 0x4000, v1
	v_addc_co_u32_e32 v16, vcc, 0, v2, vcc
	s_waitcnt vmcnt(8)
	v_add_f64 v[3:4], v[3:4], v[17:18]
	global_load_dwordx2 v[17:18], v[15:16], off
	s_waitcnt vmcnt(8)
	v_add_f64 v[3:4], v[3:4], v[19:20]
	global_load_dwordx2 v[11:12], v[11:12], off offset:3072
	s_waitcnt vmcnt(8)
	v_add_f64 v[3:4], v[3:4], v[21:22]
	global_load_dwordx2 v[19:20], v[15:16], off offset:1024
	global_load_dwordx2 v[21:22], v[15:16], off offset:2048
	s_waitcnt vmcnt(9)
	v_add_f64 v[3:4], v[3:4], v[23:24]
	v_add_co_u32_e32 v23, vcc, 0x5000, v1
	v_addc_co_u32_e32 v24, vcc, 0, v2, vcc
	s_waitcnt vmcnt(8)
	v_add_f64 v[3:4], v[3:4], v[25:26]
	global_load_dwordx2 v[25:26], v[23:24], off
	s_waitcnt vmcnt(8)
	v_add_f64 v[3:4], v[3:4], v[5:6]
	global_load_dwordx2 v[15:16], v[15:16], off offset:3072
	s_waitcnt vmcnt(8)
	v_add_f64 v[3:4], v[3:4], v[7:8]
	global_load_dwordx2 v[5:6], v[23:24], off offset:1024
	global_load_dwordx2 v[7:8], v[23:24], off offset:2048
	s_waitcnt vmcnt(9)
	v_add_f64 v[3:4], v[3:4], v[9:10]
	global_load_dwordx2 v[9:10], v[23:24], off offset:3072
	v_add_co_u32_e32 v23, vcc, 0x6000, v1
	v_addc_co_u32_e32 v24, vcc, 0, v2, vcc
	s_waitcnt vmcnt(9)
	v_add_f64 v[3:4], v[3:4], v[13:14]
	global_load_dwordx2 v[13:14], v[23:24], off
	s_waitcnt vmcnt(8)
	v_add_f64 v[3:4], v[3:4], v[11:12]
	global_load_dwordx2 v[11:12], v[23:24], off offset:1024
	v_add_f64 v[3:4], v[3:4], v[17:18]
	global_load_dwordx2 v[17:18], v[23:24], off offset:2048
	s_waitcnt vmcnt(9)
	v_add_f64 v[3:4], v[3:4], v[19:20]
	global_load_dwordx2 v[19:20], v[23:24], off offset:3072
	v_add_co_u32_e32 v23, vcc, 0x7000, v1
	v_addc_co_u32_e32 v24, vcc, 0, v2, vcc
	s_waitcnt vmcnt(9)
	v_add_f64 v[3:4], v[3:4], v[21:22]
	global_load_dwordx2 v[21:22], v[23:24], off
	s_waitcnt vmcnt(8)
	v_add_f64 v[3:4], v[3:4], v[15:16]
	global_load_dwordx2 v[15:16], v[23:24], off offset:1024
	v_add_f64 v[3:4], v[3:4], v[25:26]
	global_load_dwordx2 v[25:26], v[23:24], off offset:2048
	global_load_dwordx2 v[27:28], v[23:24], off offset:3072
	s_waitcnt vmcnt(10)
	v_add_f64 v[3:4], v[3:4], v[5:6]
	s_waitcnt vmcnt(9)
	v_add_f64 v[3:4], v[3:4], v[7:8]
	;; [unrolled: 2-line block ×11, first 2 shown]
	s_nop 1
	v_mov_b32_dpp v5, v3 quad_perm:[1,0,3,2] row_mask:0xf bank_mask:0xf
	v_mov_b32_dpp v6, v4 quad_perm:[1,0,3,2] row_mask:0xf bank_mask:0xf
	v_add_f64 v[3:4], v[3:4], v[5:6]
	s_nop 1
	v_mov_b32_dpp v5, v3 quad_perm:[2,3,0,1] row_mask:0xf bank_mask:0xf
	v_mov_b32_dpp v6, v4 quad_perm:[2,3,0,1] row_mask:0xf bank_mask:0xf
	v_add_f64 v[3:4], v[3:4], v[5:6]
	s_nop 1
	v_mov_b32_dpp v5, v3 row_ror:4 row_mask:0xf bank_mask:0xf
	v_mov_b32_dpp v6, v4 row_ror:4 row_mask:0xf bank_mask:0xf
	v_add_f64 v[3:4], v[3:4], v[5:6]
	s_nop 1
	v_mov_b32_dpp v5, v3 row_ror:8 row_mask:0xf bank_mask:0xf
	v_mov_b32_dpp v6, v4 row_ror:8 row_mask:0xf bank_mask:0xf
	v_add_f64 v[3:4], v[3:4], v[5:6]
	s_nop 1
	v_mov_b32_dpp v5, v3 row_bcast:15 row_mask:0xf bank_mask:0xf
	v_mov_b32_dpp v6, v4 row_bcast:15 row_mask:0xf bank_mask:0xf
	v_add_f64 v[3:4], v[3:4], v[5:6]
	s_nop 1
	v_mov_b32_dpp v5, v3 row_bcast:31 row_mask:0xf bank_mask:0xf
	v_mov_b32_dpp v6, v4 row_bcast:31 row_mask:0xf bank_mask:0xf
	v_add_f64 v[3:4], v[3:4], v[5:6]
	v_mbcnt_hi_u32_b32 v6, -1, v67
	v_lshlrev_b32_e32 v5, 2, v6
	v_or_b32_e32 v7, 0xfc, v5
	v_cmp_eq_u32_e32 vcc, 0, v6
	ds_bpermute_b32 v3, v7, v3
	ds_bpermute_b32 v4, v7, v4
	s_and_saveexec_b64 s[2:3], vcc
	s_cbranch_execz .LBB6_3
; %bb.2:
	v_lshrrev_b32_e32 v7, 3, v0
	v_and_b32_e32 v7, 8, v7
	s_waitcnt lgkmcnt(0)
	ds_write_b64 v7, v[3:4]
.LBB6_3:
	s_or_b64 exec, exec, s[2:3]
	v_cmp_gt_u32_e32 vcc, 64, v0
	s_waitcnt lgkmcnt(0)
	s_barrier
	s_and_saveexec_b64 s[2:3], vcc
	s_cbranch_execz .LBB6_5
; %bb.4:
	v_and_b32_e32 v3, 1, v6
	v_lshlrev_b32_e32 v3, 3, v3
	ds_read_b64 v[3:4], v3
	v_or_b32_e32 v6, 4, v5
	s_waitcnt lgkmcnt(0)
	ds_bpermute_b32 v5, v6, v3
	ds_bpermute_b32 v6, v6, v4
	s_waitcnt lgkmcnt(0)
	v_add_f64 v[3:4], v[3:4], v[5:6]
.LBB6_5:
	s_or_b64 exec, exec, s[2:3]
	s_branch .LBB6_86
.LBB6_6:
                                        ; implicit-def: $vgpr3_vgpr4
	s_cbranch_execz .LBB6_86
; %bb.7:
	s_sub_i32 s33, s66, s0
	v_cmp_gt_u32_e32 vcc, s33, v0
                                        ; implicit-def: $vgpr3_vgpr4
	s_and_saveexec_b64 s[0:1], vcc
	s_cbranch_execz .LBB6_9
; %bb.8:
	global_load_dwordx2 v[3:4], v[1:2], off
.LBB6_9:
	s_or_b64 exec, exec, s[0:1]
	v_or_b32_e32 v5, 0x80, v0
	v_cmp_gt_u32_e64 s[0:1], s33, v5
                                        ; implicit-def: $vgpr5_vgpr6
	s_and_saveexec_b64 s[2:3], s[0:1]
	s_cbranch_execz .LBB6_11
; %bb.10:
	global_load_dwordx2 v[5:6], v[1:2], off offset:1024
.LBB6_11:
	s_or_b64 exec, exec, s[2:3]
	v_or_b32_e32 v7, 0x100, v0
	v_cmp_gt_u32_e64 s[2:3], s33, v7
                                        ; implicit-def: $vgpr7_vgpr8
	s_and_saveexec_b64 s[4:5], s[2:3]
	s_cbranch_execz .LBB6_13
; %bb.12:
	global_load_dwordx2 v[7:8], v[1:2], off offset:2048
.LBB6_13:
	s_or_b64 exec, exec, s[4:5]
	v_or_b32_e32 v9, 0x180, v0
	v_cmp_gt_u32_e64 s[4:5], s33, v9
                                        ; implicit-def: $vgpr9_vgpr10
	s_and_saveexec_b64 s[8:9], s[4:5]
	s_cbranch_execz .LBB6_15
; %bb.14:
	global_load_dwordx2 v[9:10], v[1:2], off offset:3072
.LBB6_15:
	s_or_b64 exec, exec, s[8:9]
	v_or_b32_e32 v11, 0x200, v0
	v_cmp_gt_u32_e64 s[8:9], s33, v11
                                        ; implicit-def: $vgpr11_vgpr12
	s_and_saveexec_b64 s[10:11], s[8:9]
	s_cbranch_execz .LBB6_17
; %bb.16:
	v_add_co_u32_e32 v11, vcc, 0x1000, v1
	v_addc_co_u32_e32 v12, vcc, 0, v2, vcc
	global_load_dwordx2 v[11:12], v[11:12], off
.LBB6_17:
	s_or_b64 exec, exec, s[10:11]
	v_or_b32_e32 v13, 0x280, v0
	v_cmp_gt_u32_e64 s[10:11], s33, v13
                                        ; implicit-def: $vgpr13_vgpr14
	s_and_saveexec_b64 s[12:13], s[10:11]
	s_cbranch_execz .LBB6_19
; %bb.18:
	v_add_co_u32_e32 v13, vcc, 0x1000, v1
	v_addc_co_u32_e32 v14, vcc, 0, v2, vcc
	global_load_dwordx2 v[13:14], v[13:14], off offset:1024
.LBB6_19:
	s_or_b64 exec, exec, s[12:13]
	v_or_b32_e32 v15, 0x300, v0
	v_cmp_gt_u32_e64 s[12:13], s33, v15
                                        ; implicit-def: $vgpr15_vgpr16
	s_and_saveexec_b64 s[14:15], s[12:13]
	s_cbranch_execz .LBB6_21
; %bb.20:
	v_add_co_u32_e32 v15, vcc, 0x1000, v1
	v_addc_co_u32_e32 v16, vcc, 0, v2, vcc
	global_load_dwordx2 v[15:16], v[15:16], off offset:2048
.LBB6_21:
	s_or_b64 exec, exec, s[14:15]
	v_or_b32_e32 v17, 0x380, v0
	v_cmp_gt_u32_e64 s[14:15], s33, v17
                                        ; implicit-def: $vgpr17_vgpr18
	s_and_saveexec_b64 s[16:17], s[14:15]
	s_cbranch_execz .LBB6_23
; %bb.22:
	v_add_co_u32_e32 v17, vcc, 0x1000, v1
	v_addc_co_u32_e32 v18, vcc, 0, v2, vcc
	global_load_dwordx2 v[17:18], v[17:18], off offset:3072
.LBB6_23:
	s_or_b64 exec, exec, s[16:17]
	v_or_b32_e32 v19, 0x400, v0
	v_cmp_gt_u32_e64 s[16:17], s33, v19
                                        ; implicit-def: $vgpr19_vgpr20
	s_and_saveexec_b64 s[18:19], s[16:17]
	s_cbranch_execz .LBB6_25
; %bb.24:
	v_add_co_u32_e32 v19, vcc, 0x2000, v1
	v_addc_co_u32_e32 v20, vcc, 0, v2, vcc
	global_load_dwordx2 v[19:20], v[19:20], off
.LBB6_25:
	s_or_b64 exec, exec, s[18:19]
	v_or_b32_e32 v21, 0x480, v0
	v_cmp_gt_u32_e64 s[18:19], s33, v21
                                        ; implicit-def: $vgpr21_vgpr22
	s_and_saveexec_b64 s[20:21], s[18:19]
	s_cbranch_execz .LBB6_27
; %bb.26:
	v_add_co_u32_e32 v21, vcc, 0x2000, v1
	v_addc_co_u32_e32 v22, vcc, 0, v2, vcc
	global_load_dwordx2 v[21:22], v[21:22], off offset:1024
.LBB6_27:
	s_or_b64 exec, exec, s[20:21]
	v_or_b32_e32 v23, 0x500, v0
	v_cmp_gt_u32_e64 s[20:21], s33, v23
                                        ; implicit-def: $vgpr23_vgpr24
	s_and_saveexec_b64 s[22:23], s[20:21]
	s_cbranch_execz .LBB6_29
; %bb.28:
	v_add_co_u32_e32 v23, vcc, 0x2000, v1
	v_addc_co_u32_e32 v24, vcc, 0, v2, vcc
	global_load_dwordx2 v[23:24], v[23:24], off offset:2048
.LBB6_29:
	s_or_b64 exec, exec, s[22:23]
	v_or_b32_e32 v25, 0x580, v0
	v_cmp_gt_u32_e64 s[22:23], s33, v25
                                        ; implicit-def: $vgpr25_vgpr26
	s_and_saveexec_b64 s[24:25], s[22:23]
	s_cbranch_execz .LBB6_31
; %bb.30:
	v_add_co_u32_e32 v25, vcc, 0x2000, v1
	v_addc_co_u32_e32 v26, vcc, 0, v2, vcc
	global_load_dwordx2 v[25:26], v[25:26], off offset:3072
.LBB6_31:
	s_or_b64 exec, exec, s[24:25]
	v_or_b32_e32 v27, 0x600, v0
	v_cmp_gt_u32_e64 s[24:25], s33, v27
                                        ; implicit-def: $vgpr27_vgpr28
	s_and_saveexec_b64 s[26:27], s[24:25]
	s_cbranch_execz .LBB6_33
; %bb.32:
	v_add_co_u32_e32 v27, vcc, 0x3000, v1
	v_addc_co_u32_e32 v28, vcc, 0, v2, vcc
	global_load_dwordx2 v[27:28], v[27:28], off
.LBB6_33:
	s_or_b64 exec, exec, s[26:27]
	v_or_b32_e32 v29, 0x680, v0
	v_cmp_gt_u32_e64 s[26:27], s33, v29
                                        ; implicit-def: $vgpr29_vgpr30
	s_and_saveexec_b64 s[28:29], s[26:27]
	s_cbranch_execz .LBB6_35
; %bb.34:
	v_add_co_u32_e32 v29, vcc, 0x3000, v1
	v_addc_co_u32_e32 v30, vcc, 0, v2, vcc
	global_load_dwordx2 v[29:30], v[29:30], off offset:1024
.LBB6_35:
	s_or_b64 exec, exec, s[28:29]
	v_or_b32_e32 v31, 0x700, v0
	v_cmp_gt_u32_e64 s[28:29], s33, v31
                                        ; implicit-def: $vgpr31_vgpr32
	s_and_saveexec_b64 s[30:31], s[28:29]
	s_cbranch_execz .LBB6_37
; %bb.36:
	v_add_co_u32_e32 v31, vcc, 0x3000, v1
	v_addc_co_u32_e32 v32, vcc, 0, v2, vcc
	global_load_dwordx2 v[31:32], v[31:32], off offset:2048
.LBB6_37:
	s_or_b64 exec, exec, s[30:31]
	v_or_b32_e32 v33, 0x780, v0
	v_cmp_gt_u32_e64 s[30:31], s33, v33
                                        ; implicit-def: $vgpr33_vgpr34
	s_and_saveexec_b64 s[34:35], s[30:31]
	s_cbranch_execz .LBB6_39
; %bb.38:
	v_add_co_u32_e32 v33, vcc, 0x3000, v1
	v_addc_co_u32_e32 v34, vcc, 0, v2, vcc
	global_load_dwordx2 v[33:34], v[33:34], off offset:3072
.LBB6_39:
	s_or_b64 exec, exec, s[34:35]
	v_or_b32_e32 v35, 0x800, v0
	v_cmp_gt_u32_e64 s[34:35], s33, v35
                                        ; implicit-def: $vgpr35_vgpr36
	s_and_saveexec_b64 s[36:37], s[34:35]
	s_cbranch_execz .LBB6_41
; %bb.40:
	v_add_co_u32_e32 v35, vcc, 0x4000, v1
	v_addc_co_u32_e32 v36, vcc, 0, v2, vcc
	global_load_dwordx2 v[35:36], v[35:36], off
.LBB6_41:
	s_or_b64 exec, exec, s[36:37]
	v_or_b32_e32 v37, 0x880, v0
	v_cmp_gt_u32_e64 s[36:37], s33, v37
                                        ; implicit-def: $vgpr37_vgpr38
	s_and_saveexec_b64 s[38:39], s[36:37]
	s_cbranch_execz .LBB6_43
; %bb.42:
	v_add_co_u32_e32 v37, vcc, 0x4000, v1
	v_addc_co_u32_e32 v38, vcc, 0, v2, vcc
	global_load_dwordx2 v[37:38], v[37:38], off offset:1024
.LBB6_43:
	s_or_b64 exec, exec, s[38:39]
	v_or_b32_e32 v39, 0x900, v0
	v_cmp_gt_u32_e64 s[38:39], s33, v39
                                        ; implicit-def: $vgpr39_vgpr40
	s_and_saveexec_b64 s[40:41], s[38:39]
	s_cbranch_execz .LBB6_45
; %bb.44:
	v_add_co_u32_e32 v39, vcc, 0x4000, v1
	v_addc_co_u32_e32 v40, vcc, 0, v2, vcc
	global_load_dwordx2 v[39:40], v[39:40], off offset:2048
.LBB6_45:
	s_or_b64 exec, exec, s[40:41]
	v_or_b32_e32 v41, 0x980, v0
	v_cmp_gt_u32_e64 s[40:41], s33, v41
                                        ; implicit-def: $vgpr41_vgpr42
	s_and_saveexec_b64 s[42:43], s[40:41]
	s_cbranch_execz .LBB6_47
; %bb.46:
	v_add_co_u32_e32 v41, vcc, 0x4000, v1
	v_addc_co_u32_e32 v42, vcc, 0, v2, vcc
	global_load_dwordx2 v[41:42], v[41:42], off offset:3072
.LBB6_47:
	s_or_b64 exec, exec, s[42:43]
	v_or_b32_e32 v43, 0xa00, v0
	v_cmp_gt_u32_e64 s[42:43], s33, v43
                                        ; implicit-def: $vgpr43_vgpr44
	s_and_saveexec_b64 s[44:45], s[42:43]
	s_cbranch_execz .LBB6_49
; %bb.48:
	v_add_co_u32_e32 v43, vcc, 0x5000, v1
	v_addc_co_u32_e32 v44, vcc, 0, v2, vcc
	global_load_dwordx2 v[43:44], v[43:44], off
.LBB6_49:
	s_or_b64 exec, exec, s[44:45]
	v_or_b32_e32 v45, 0xa80, v0
	v_cmp_gt_u32_e64 s[44:45], s33, v45
                                        ; implicit-def: $vgpr45_vgpr46
	s_and_saveexec_b64 s[46:47], s[44:45]
	s_cbranch_execz .LBB6_51
; %bb.50:
	v_add_co_u32_e32 v45, vcc, 0x5000, v1
	v_addc_co_u32_e32 v46, vcc, 0, v2, vcc
	global_load_dwordx2 v[45:46], v[45:46], off offset:1024
.LBB6_51:
	s_or_b64 exec, exec, s[46:47]
	v_or_b32_e32 v47, 0xb00, v0
	v_cmp_gt_u32_e64 s[46:47], s33, v47
                                        ; implicit-def: $vgpr47_vgpr48
	s_and_saveexec_b64 s[48:49], s[46:47]
	s_cbranch_execz .LBB6_53
; %bb.52:
	v_add_co_u32_e32 v47, vcc, 0x5000, v1
	v_addc_co_u32_e32 v48, vcc, 0, v2, vcc
	global_load_dwordx2 v[47:48], v[47:48], off offset:2048
.LBB6_53:
	s_or_b64 exec, exec, s[48:49]
	v_or_b32_e32 v49, 0xb80, v0
	v_cmp_gt_u32_e64 s[48:49], s33, v49
                                        ; implicit-def: $vgpr49_vgpr50
	s_and_saveexec_b64 s[50:51], s[48:49]
	s_cbranch_execz .LBB6_55
; %bb.54:
	v_add_co_u32_e32 v49, vcc, 0x5000, v1
	v_addc_co_u32_e32 v50, vcc, 0, v2, vcc
	global_load_dwordx2 v[49:50], v[49:50], off offset:3072
.LBB6_55:
	s_or_b64 exec, exec, s[50:51]
	v_or_b32_e32 v51, 0xc00, v0
	v_cmp_gt_u32_e64 s[50:51], s33, v51
                                        ; implicit-def: $vgpr51_vgpr52
	s_and_saveexec_b64 s[52:53], s[50:51]
	s_cbranch_execz .LBB6_57
; %bb.56:
	v_add_co_u32_e32 v51, vcc, 0x6000, v1
	v_addc_co_u32_e32 v52, vcc, 0, v2, vcc
	global_load_dwordx2 v[51:52], v[51:52], off
.LBB6_57:
	s_or_b64 exec, exec, s[52:53]
	v_or_b32_e32 v53, 0xc80, v0
	v_cmp_gt_u32_e64 s[52:53], s33, v53
                                        ; implicit-def: $vgpr53_vgpr54
	s_and_saveexec_b64 s[54:55], s[52:53]
	s_cbranch_execz .LBB6_59
; %bb.58:
	v_add_co_u32_e32 v53, vcc, 0x6000, v1
	v_addc_co_u32_e32 v54, vcc, 0, v2, vcc
	global_load_dwordx2 v[53:54], v[53:54], off offset:1024
.LBB6_59:
	s_or_b64 exec, exec, s[54:55]
	v_or_b32_e32 v55, 0xd00, v0
	v_cmp_gt_u32_e64 s[54:55], s33, v55
                                        ; implicit-def: $vgpr55_vgpr56
	s_and_saveexec_b64 s[56:57], s[54:55]
	s_cbranch_execz .LBB6_61
; %bb.60:
	v_add_co_u32_e32 v55, vcc, 0x6000, v1
	v_addc_co_u32_e32 v56, vcc, 0, v2, vcc
	global_load_dwordx2 v[55:56], v[55:56], off offset:2048
.LBB6_61:
	s_or_b64 exec, exec, s[56:57]
	v_or_b32_e32 v57, 0xd80, v0
	v_cmp_gt_u32_e64 s[56:57], s33, v57
                                        ; implicit-def: $vgpr57_vgpr58
	s_and_saveexec_b64 s[58:59], s[56:57]
	s_cbranch_execz .LBB6_63
; %bb.62:
	v_add_co_u32_e32 v57, vcc, 0x6000, v1
	v_addc_co_u32_e32 v58, vcc, 0, v2, vcc
	global_load_dwordx2 v[57:58], v[57:58], off offset:3072
.LBB6_63:
	s_or_b64 exec, exec, s[58:59]
	v_or_b32_e32 v59, 0xe00, v0
	v_cmp_gt_u32_e64 s[58:59], s33, v59
                                        ; implicit-def: $vgpr59_vgpr60
	s_and_saveexec_b64 s[60:61], s[58:59]
	s_cbranch_execz .LBB6_65
; %bb.64:
	v_add_co_u32_e32 v59, vcc, 0x7000, v1
	v_addc_co_u32_e32 v60, vcc, 0, v2, vcc
	global_load_dwordx2 v[59:60], v[59:60], off
.LBB6_65:
	s_or_b64 exec, exec, s[60:61]
	v_or_b32_e32 v61, 0xe80, v0
	v_cmp_gt_u32_e64 s[60:61], s33, v61
                                        ; implicit-def: $vgpr61_vgpr62
	s_and_saveexec_b64 s[62:63], s[60:61]
	s_cbranch_execz .LBB6_67
; %bb.66:
	v_add_co_u32_e32 v61, vcc, 0x7000, v1
	v_addc_co_u32_e32 v62, vcc, 0, v2, vcc
	global_load_dwordx2 v[61:62], v[61:62], off offset:1024
.LBB6_67:
	s_or_b64 exec, exec, s[62:63]
	v_or_b32_e32 v63, 0xf00, v0
	v_cmp_gt_u32_e64 s[62:63], s33, v63
                                        ; implicit-def: $vgpr63_vgpr64
	s_and_saveexec_b64 s[64:65], s[62:63]
	s_cbranch_execz .LBB6_69
; %bb.68:
	v_add_co_u32_e32 v63, vcc, 0x7000, v1
	v_addc_co_u32_e32 v64, vcc, 0, v2, vcc
	global_load_dwordx2 v[63:64], v[63:64], off offset:2048
.LBB6_69:
	s_or_b64 exec, exec, s[64:65]
	v_or_b32_e32 v65, 0xf80, v0
	v_cmp_gt_u32_e64 s[64:65], s33, v65
                                        ; implicit-def: $vgpr65_vgpr66
	s_and_saveexec_b64 s[72:73], s[64:65]
	s_cbranch_execz .LBB6_71
; %bb.70:
	v_add_co_u32_e32 v1, vcc, 0x7000, v1
	v_addc_co_u32_e32 v2, vcc, 0, v2, vcc
	global_load_dwordx2 v[65:66], v[1:2], off offset:3072
.LBB6_71:
	s_or_b64 exec, exec, s[72:73]
	s_waitcnt vmcnt(0)
	v_add_f64 v[1:2], v[3:4], v[5:6]
	v_mbcnt_hi_u32_b32 v5, -1, v67
	v_cndmask_b32_e64 v2, v4, v2, s[0:1]
	v_cndmask_b32_e64 v1, v3, v1, s[0:1]
	v_add_f64 v[3:4], v[1:2], v[7:8]
	v_and_b32_e32 v7, 63, v5
	v_cmp_ne_u32_e32 vcc, 63, v7
	v_addc_co_u32_e32 v6, vcc, 0, v5, vcc
	v_lshlrev_b32_e32 v6, 2, v6
	v_add_u32_e32 v8, 1, v5
	v_cndmask_b32_e64 v2, v2, v4, s[2:3]
	v_cndmask_b32_e64 v1, v1, v3, s[2:3]
	v_add_f64 v[3:4], v[1:2], v[9:10]
	s_min_u32 s2, s33, 0x80
	v_cndmask_b32_e64 v2, v2, v4, s[4:5]
	v_cndmask_b32_e64 v1, v1, v3, s[4:5]
	v_add_f64 v[3:4], v[1:2], v[11:12]
	v_cndmask_b32_e64 v2, v2, v4, s[8:9]
	v_cndmask_b32_e64 v1, v1, v3, s[8:9]
	v_add_f64 v[3:4], v[1:2], v[13:14]
	;; [unrolled: 3-line block ×28, first 2 shown]
	v_cndmask_b32_e64 v2, v2, v4, s[64:65]
	v_cndmask_b32_e64 v1, v1, v3, s[64:65]
	ds_bpermute_b32 v3, v6, v1
	ds_bpermute_b32 v4, v6, v2
	v_and_b32_e32 v6, 64, v0
	v_sub_u32_e64 v6, s2, v6 clamp
	v_cmp_lt_u32_e32 vcc, v8, v6
	s_and_saveexec_b64 s[0:1], vcc
	s_cbranch_execz .LBB6_73
; %bb.72:
	s_waitcnt lgkmcnt(0)
	v_add_f64 v[1:2], v[1:2], v[3:4]
.LBB6_73:
	s_or_b64 exec, exec, s[0:1]
	v_cmp_gt_u32_e32 vcc, 62, v7
	s_waitcnt lgkmcnt(1)
	v_cndmask_b32_e64 v3, 0, 1, vcc
	v_lshlrev_b32_e32 v3, 1, v3
	s_waitcnt lgkmcnt(0)
	v_add_lshl_u32 v4, v3, v5, 2
	ds_bpermute_b32 v3, v4, v1
	ds_bpermute_b32 v4, v4, v2
	v_add_u32_e32 v8, 2, v5
	v_cmp_lt_u32_e32 vcc, v8, v6
	s_and_saveexec_b64 s[0:1], vcc
	s_cbranch_execz .LBB6_75
; %bb.74:
	s_waitcnt lgkmcnt(0)
	v_add_f64 v[1:2], v[1:2], v[3:4]
.LBB6_75:
	s_or_b64 exec, exec, s[0:1]
	v_cmp_gt_u32_e32 vcc, 60, v7
	s_waitcnt lgkmcnt(1)
	v_cndmask_b32_e64 v3, 0, 1, vcc
	v_lshlrev_b32_e32 v3, 2, v3
	s_waitcnt lgkmcnt(0)
	v_add_lshl_u32 v4, v3, v5, 2
	ds_bpermute_b32 v3, v4, v1
	ds_bpermute_b32 v4, v4, v2
	v_add_u32_e32 v8, 4, v5
	;; [unrolled: 17-line block ×5, first 2 shown]
	v_cmp_lt_u32_e32 vcc, v7, v6
	s_waitcnt lgkmcnt(0)
	v_add_f64 v[3:4], v[1:2], v[3:4]
	v_cndmask_b32_e32 v4, v2, v4, vcc
	v_cndmask_b32_e32 v3, v1, v3, vcc
	v_cmp_eq_u32_e32 vcc, 0, v5
	s_and_saveexec_b64 s[0:1], vcc
	s_cbranch_execz .LBB6_83
; %bb.82:
	v_lshrrev_b32_e32 v1, 3, v0
	v_and_b32_e32 v1, 8, v1
	ds_write_b64 v1, v[3:4] offset:16
.LBB6_83:
	s_or_b64 exec, exec, s[0:1]
	v_cmp_gt_u32_e32 vcc, 2, v0
	s_waitcnt lgkmcnt(0)
	s_barrier
	s_and_saveexec_b64 s[0:1], vcc
	s_cbranch_execz .LBB6_85
; %bb.84:
	v_lshlrev_b32_e32 v1, 3, v5
	ds_read_b64 v[1:2], v1 offset:16
	v_lshl_or_b32 v4, v5, 2, 4
	s_add_i32 s2, s2, 63
	v_and_b32_e32 v5, 1, v5
	s_lshr_b32 s2, s2, 6
	s_waitcnt lgkmcnt(0)
	ds_bpermute_b32 v3, v4, v1
	ds_bpermute_b32 v4, v4, v2
	v_add_u32_e32 v5, 1, v5
	v_cmp_gt_u32_e32 vcc, s2, v5
	s_waitcnt lgkmcnt(0)
	v_add_f64 v[3:4], v[1:2], v[3:4]
	v_cndmask_b32_e32 v4, v2, v4, vcc
	v_cndmask_b32_e32 v3, v1, v3, vcc
.LBB6_85:
	s_or_b64 exec, exec, s[0:1]
.LBB6_86:
	v_cmp_eq_u32_e32 vcc, 0, v0
	s_and_saveexec_b64 s[0:1], vcc
	s_cbranch_execnz .LBB6_88
; %bb.87:
	s_endpgm
.LBB6_88:
	v_add_f64 v[0:1], v[3:4], s[70:71]
	s_lshl_b64 s[0:1], s[6:7], 3
	s_add_u32 s0, s68, s0
	s_addc_u32 s1, s69, s1
	s_cmp_eq_u64 s[66:67], 0
	v_mov_b32_e32 v3, s71
	s_cselect_b64 vcc, -1, 0
	v_mov_b32_e32 v2, 0
	v_cndmask_b32_e32 v1, v1, v3, vcc
	v_mov_b32_e32 v3, s70
	v_cndmask_b32_e32 v0, v0, v3, vcc
	global_store_dwordx2 v2, v[0:1], s[0:1]
	s_endpgm
	.section	.rodata,"a",@progbits
	.p2align	6, 0x0
	.amdhsa_kernel _ZN7rocprim6detail19block_reduce_kernelILb1ELb1ELj8ENS0_21wrapped_reduce_configINS_14default_configEdEEdPdS5_dN6thrust4plusIdEEEEvT4_mT5_T6_T7_
		.amdhsa_group_segment_fixed_size 32
		.amdhsa_private_segment_fixed_size 0
		.amdhsa_kernarg_size 36
		.amdhsa_user_sgpr_count 6
		.amdhsa_user_sgpr_private_segment_buffer 1
		.amdhsa_user_sgpr_dispatch_ptr 0
		.amdhsa_user_sgpr_queue_ptr 0
		.amdhsa_user_sgpr_kernarg_segment_ptr 1
		.amdhsa_user_sgpr_dispatch_id 0
		.amdhsa_user_sgpr_flat_scratch_init 0
		.amdhsa_user_sgpr_private_segment_size 0
		.amdhsa_uses_dynamic_stack 0
		.amdhsa_system_sgpr_private_segment_wavefront_offset 0
		.amdhsa_system_sgpr_workgroup_id_x 1
		.amdhsa_system_sgpr_workgroup_id_y 0
		.amdhsa_system_sgpr_workgroup_id_z 0
		.amdhsa_system_sgpr_workgroup_info 0
		.amdhsa_system_vgpr_workitem_id 0
		.amdhsa_next_free_vgpr 68
		.amdhsa_next_free_sgpr 74
		.amdhsa_reserve_vcc 1
		.amdhsa_reserve_flat_scratch 0
		.amdhsa_float_round_mode_32 0
		.amdhsa_float_round_mode_16_64 0
		.amdhsa_float_denorm_mode_32 3
		.amdhsa_float_denorm_mode_16_64 3
		.amdhsa_dx10_clamp 1
		.amdhsa_ieee_mode 1
		.amdhsa_fp16_overflow 0
		.amdhsa_exception_fp_ieee_invalid_op 0
		.amdhsa_exception_fp_denorm_src 0
		.amdhsa_exception_fp_ieee_div_zero 0
		.amdhsa_exception_fp_ieee_overflow 0
		.amdhsa_exception_fp_ieee_underflow 0
		.amdhsa_exception_fp_ieee_inexact 0
		.amdhsa_exception_int_div_zero 0
	.end_amdhsa_kernel
	.section	.text._ZN7rocprim6detail19block_reduce_kernelILb1ELb1ELj8ENS0_21wrapped_reduce_configINS_14default_configEdEEdPdS5_dN6thrust4plusIdEEEEvT4_mT5_T6_T7_,"axG",@progbits,_ZN7rocprim6detail19block_reduce_kernelILb1ELb1ELj8ENS0_21wrapped_reduce_configINS_14default_configEdEEdPdS5_dN6thrust4plusIdEEEEvT4_mT5_T6_T7_,comdat
.Lfunc_end6:
	.size	_ZN7rocprim6detail19block_reduce_kernelILb1ELb1ELj8ENS0_21wrapped_reduce_configINS_14default_configEdEEdPdS5_dN6thrust4plusIdEEEEvT4_mT5_T6_T7_, .Lfunc_end6-_ZN7rocprim6detail19block_reduce_kernelILb1ELb1ELj8ENS0_21wrapped_reduce_configINS_14default_configEdEEdPdS5_dN6thrust4plusIdEEEEvT4_mT5_T6_T7_
                                        ; -- End function
	.section	.AMDGPU.csdata,"",@progbits
; Kernel info:
; codeLenInByte = 4028
; NumSgprs: 78
; NumVgprs: 68
; ScratchSize: 0
; MemoryBound: 0
; FloatMode: 240
; IeeeMode: 1
; LDSByteSize: 32 bytes/workgroup (compile time only)
; SGPRBlocks: 9
; VGPRBlocks: 16
; NumSGPRsForWavesPerEU: 78
; NumVGPRsForWavesPerEU: 68
; Occupancy: 3
; WaveLimiterHint : 1
; COMPUTE_PGM_RSRC2:SCRATCH_EN: 0
; COMPUTE_PGM_RSRC2:USER_SGPR: 6
; COMPUTE_PGM_RSRC2:TRAP_HANDLER: 0
; COMPUTE_PGM_RSRC2:TGID_X_EN: 1
; COMPUTE_PGM_RSRC2:TGID_Y_EN: 0
; COMPUTE_PGM_RSRC2:TGID_Z_EN: 0
; COMPUTE_PGM_RSRC2:TIDIG_COMP_CNT: 0
	.section	.text._ZN7rocprim6detail19block_reduce_kernelILb1ELb1ELj16ENS0_21wrapped_reduce_configINS_14default_configEdEEdPdS5_dN6thrust4plusIdEEEEvT4_mT5_T6_T7_,"axG",@progbits,_ZN7rocprim6detail19block_reduce_kernelILb1ELb1ELj16ENS0_21wrapped_reduce_configINS_14default_configEdEEdPdS5_dN6thrust4plusIdEEEEvT4_mT5_T6_T7_,comdat
	.protected	_ZN7rocprim6detail19block_reduce_kernelILb1ELb1ELj16ENS0_21wrapped_reduce_configINS_14default_configEdEEdPdS5_dN6thrust4plusIdEEEEvT4_mT5_T6_T7_ ; -- Begin function _ZN7rocprim6detail19block_reduce_kernelILb1ELb1ELj16ENS0_21wrapped_reduce_configINS_14default_configEdEEdPdS5_dN6thrust4plusIdEEEEvT4_mT5_T6_T7_
	.globl	_ZN7rocprim6detail19block_reduce_kernelILb1ELb1ELj16ENS0_21wrapped_reduce_configINS_14default_configEdEEdPdS5_dN6thrust4plusIdEEEEvT4_mT5_T6_T7_
	.p2align	8
	.type	_ZN7rocprim6detail19block_reduce_kernelILb1ELb1ELj16ENS0_21wrapped_reduce_configINS_14default_configEdEEdPdS5_dN6thrust4plusIdEEEEvT4_mT5_T6_T7_,@function
_ZN7rocprim6detail19block_reduce_kernelILb1ELb1ELj16ENS0_21wrapped_reduce_configINS_14default_configEdEEdPdS5_dN6thrust4plusIdEEEEvT4_mT5_T6_T7_: ; @_ZN7rocprim6detail19block_reduce_kernelILb1ELb1ELj16ENS0_21wrapped_reduce_configINS_14default_configEdEEdPdS5_dN6thrust4plusIdEEEEvT4_mT5_T6_T7_
; %bb.0:
	s_load_dwordx8 s[8:15], s[4:5], 0x0
	s_lshl_b32 s0, s6, 13
	s_mov_b32 s1, 0
	s_lshl_b64 s[4:5], s[0:1], 3
                                        ; implicit-def: $vgpr132 : SGPR spill to VGPR lane
	s_mov_b32 s7, s1
	s_waitcnt lgkmcnt(0)
	s_lshr_b64 s[2:3], s[10:11], 13
	s_add_u32 s1, s8, s4
	v_writelane_b32 v132, s8, 0
	v_writelane_b32 v132, s9, 1
	;; [unrolled: 1-line block ×5, first 2 shown]
	s_addc_u32 s4, s9, s5
	v_lshlrev_b32_e32 v1, 3, v0
	v_writelane_b32 v132, s13, 5
	v_mov_b32_e32 v2, s4
	v_add_co_u32_e32 v1, vcc, s1, v1
	v_writelane_b32 v132, s14, 6
	s_cmp_lg_u64 s[2:3], s[6:7]
	v_addc_co_u32_e32 v2, vcc, 0, v2, vcc
	v_mbcnt_lo_u32_b32 v131, -1, 0
	v_writelane_b32 v132, s15, 7
	s_cbranch_scc0 .LBB7_6
; %bb.1:
	global_load_dwordx2 v[3:4], v[1:2], off
	global_load_dwordx2 v[5:6], v[1:2], off offset:1024
	global_load_dwordx2 v[7:8], v[1:2], off offset:2048
	;; [unrolled: 1-line block ×3, first 2 shown]
	v_add_co_u32_e32 v11, vcc, 0x1000, v1
	v_addc_co_u32_e32 v12, vcc, 0, v2, vcc
	global_load_dwordx2 v[13:14], v[11:12], off
	global_load_dwordx2 v[15:16], v[11:12], off offset:1024
	global_load_dwordx2 v[17:18], v[11:12], off offset:2048
	;; [unrolled: 1-line block ×3, first 2 shown]
	v_add_co_u32_e32 v11, vcc, 0x2000, v1
	v_addc_co_u32_e32 v12, vcc, 0, v2, vcc
	global_load_dwordx2 v[21:22], v[11:12], off
	global_load_dwordx2 v[23:24], v[11:12], off offset:1024
	global_load_dwordx2 v[25:26], v[11:12], off offset:2048
	s_waitcnt vmcnt(9)
	v_add_f64 v[3:4], v[3:4], v[5:6]
	global_load_dwordx2 v[5:6], v[11:12], off offset:3072
	v_add_co_u32_e32 v11, vcc, 0x3000, v1
	v_addc_co_u32_e32 v12, vcc, 0, v2, vcc
	s_waitcnt vmcnt(9)
	v_add_f64 v[3:4], v[3:4], v[7:8]
	global_load_dwordx2 v[7:8], v[11:12], off
	s_waitcnt vmcnt(9)
	v_add_f64 v[3:4], v[3:4], v[9:10]
	global_load_dwordx2 v[9:10], v[11:12], off offset:1024
	s_waitcnt vmcnt(9)
	v_add_f64 v[3:4], v[3:4], v[13:14]
	global_load_dwordx2 v[13:14], v[11:12], off offset:2048
	s_waitcnt vmcnt(9)
	v_add_f64 v[3:4], v[3:4], v[15:16]
	v_add_co_u32_e32 v15, vcc, 0x4000, v1
	v_addc_co_u32_e32 v16, vcc, 0, v2, vcc
	s_waitcnt vmcnt(8)
	v_add_f64 v[3:4], v[3:4], v[17:18]
	global_load_dwordx2 v[17:18], v[15:16], off
	s_waitcnt vmcnt(8)
	v_add_f64 v[3:4], v[3:4], v[19:20]
	global_load_dwordx2 v[11:12], v[11:12], off offset:3072
	s_waitcnt vmcnt(8)
	v_add_f64 v[3:4], v[3:4], v[21:22]
	global_load_dwordx2 v[19:20], v[15:16], off offset:1024
	global_load_dwordx2 v[21:22], v[15:16], off offset:2048
	s_waitcnt vmcnt(9)
	v_add_f64 v[3:4], v[3:4], v[23:24]
	v_add_co_u32_e32 v23, vcc, 0x5000, v1
	v_addc_co_u32_e32 v24, vcc, 0, v2, vcc
	s_waitcnt vmcnt(8)
	v_add_f64 v[3:4], v[3:4], v[25:26]
	global_load_dwordx2 v[25:26], v[23:24], off
	s_waitcnt vmcnt(8)
	v_add_f64 v[3:4], v[3:4], v[5:6]
	global_load_dwordx2 v[15:16], v[15:16], off offset:3072
	s_waitcnt vmcnt(8)
	v_add_f64 v[3:4], v[3:4], v[7:8]
	global_load_dwordx2 v[5:6], v[23:24], off offset:1024
	global_load_dwordx2 v[7:8], v[23:24], off offset:2048
	s_waitcnt vmcnt(9)
	v_add_f64 v[3:4], v[3:4], v[9:10]
	global_load_dwordx2 v[9:10], v[23:24], off offset:3072
	v_add_co_u32_e32 v23, vcc, 0x6000, v1
	v_addc_co_u32_e32 v24, vcc, 0, v2, vcc
	s_waitcnt vmcnt(9)
	v_add_f64 v[3:4], v[3:4], v[13:14]
	global_load_dwordx2 v[13:14], v[23:24], off
	s_waitcnt vmcnt(8)
	v_add_f64 v[3:4], v[3:4], v[11:12]
	global_load_dwordx2 v[11:12], v[23:24], off offset:1024
	v_add_f64 v[3:4], v[3:4], v[17:18]
	global_load_dwordx2 v[17:18], v[23:24], off offset:2048
	s_waitcnt vmcnt(9)
	v_add_f64 v[3:4], v[3:4], v[19:20]
	global_load_dwordx2 v[19:20], v[23:24], off offset:3072
	v_add_co_u32_e32 v23, vcc, 0x7000, v1
	v_addc_co_u32_e32 v24, vcc, 0, v2, vcc
	s_waitcnt vmcnt(9)
	v_add_f64 v[3:4], v[3:4], v[21:22]
	global_load_dwordx2 v[21:22], v[23:24], off
	s_waitcnt vmcnt(8)
	v_add_f64 v[3:4], v[3:4], v[15:16]
	global_load_dwordx2 v[15:16], v[23:24], off offset:1024
	v_add_f64 v[3:4], v[3:4], v[25:26]
	global_load_dwordx2 v[25:26], v[23:24], off offset:2048
	s_waitcnt vmcnt(9)
	v_add_f64 v[3:4], v[3:4], v[5:6]
	global_load_dwordx2 v[5:6], v[23:24], off offset:3072
	v_add_co_u32_e32 v23, vcc, 0x8000, v1
	v_addc_co_u32_e32 v24, vcc, 0, v2, vcc
	s_waitcnt vmcnt(9)
	v_add_f64 v[3:4], v[3:4], v[7:8]
	global_load_dwordx2 v[7:8], v[23:24], off
	s_waitcnt vmcnt(9)
	v_add_f64 v[3:4], v[3:4], v[9:10]
	global_load_dwordx2 v[9:10], v[23:24], off offset:1024
	s_waitcnt vmcnt(9)
	v_add_f64 v[3:4], v[3:4], v[13:14]
	global_load_dwordx2 v[13:14], v[23:24], off offset:2048
	s_waitcnt vmcnt(9)
	v_add_f64 v[3:4], v[3:4], v[11:12]
	global_load_dwordx2 v[11:12], v[23:24], off offset:3072
	v_add_co_u32_e32 v23, vcc, 0x9000, v1
	v_addc_co_u32_e32 v24, vcc, 0, v2, vcc
	s_waitcnt vmcnt(9)
	v_add_f64 v[3:4], v[3:4], v[17:18]
	global_load_dwordx2 v[17:18], v[23:24], off
	s_waitcnt vmcnt(9)
	v_add_f64 v[3:4], v[3:4], v[19:20]
	global_load_dwordx2 v[19:20], v[23:24], off offset:1024
	s_waitcnt vmcnt(9)
	;; [unrolled: 14-line block ×8, first 2 shown]
	v_add_f64 v[3:4], v[3:4], v[7:8]
	global_load_dwordx2 v[7:8], v[23:24], off offset:2048
	global_load_dwordx2 v[27:28], v[23:24], off offset:3072
	s_waitcnt vmcnt(10)
	v_add_f64 v[3:4], v[3:4], v[9:10]
	s_waitcnt vmcnt(9)
	v_add_f64 v[3:4], v[3:4], v[13:14]
	;; [unrolled: 2-line block ×11, first 2 shown]
	s_nop 1
	v_mov_b32_dpp v5, v3 quad_perm:[1,0,3,2] row_mask:0xf bank_mask:0xf
	v_mov_b32_dpp v6, v4 quad_perm:[1,0,3,2] row_mask:0xf bank_mask:0xf
	v_add_f64 v[3:4], v[3:4], v[5:6]
	s_nop 1
	v_mov_b32_dpp v5, v3 quad_perm:[2,3,0,1] row_mask:0xf bank_mask:0xf
	v_mov_b32_dpp v6, v4 quad_perm:[2,3,0,1] row_mask:0xf bank_mask:0xf
	v_add_f64 v[3:4], v[3:4], v[5:6]
	s_nop 1
	v_mov_b32_dpp v5, v3 row_ror:4 row_mask:0xf bank_mask:0xf
	v_mov_b32_dpp v6, v4 row_ror:4 row_mask:0xf bank_mask:0xf
	v_add_f64 v[3:4], v[3:4], v[5:6]
	s_nop 1
	v_mov_b32_dpp v5, v3 row_ror:8 row_mask:0xf bank_mask:0xf
	v_mov_b32_dpp v6, v4 row_ror:8 row_mask:0xf bank_mask:0xf
	v_add_f64 v[3:4], v[3:4], v[5:6]
	s_nop 1
	v_mov_b32_dpp v5, v3 row_bcast:15 row_mask:0xf bank_mask:0xf
	v_mov_b32_dpp v6, v4 row_bcast:15 row_mask:0xf bank_mask:0xf
	v_add_f64 v[3:4], v[3:4], v[5:6]
	s_nop 1
	v_mov_b32_dpp v5, v3 row_bcast:31 row_mask:0xf bank_mask:0xf
	v_mov_b32_dpp v6, v4 row_bcast:31 row_mask:0xf bank_mask:0xf
	v_add_f64 v[3:4], v[3:4], v[5:6]
	v_mbcnt_hi_u32_b32 v6, -1, v131
	v_lshlrev_b32_e32 v5, 2, v6
	v_or_b32_e32 v7, 0xfc, v5
	v_cmp_eq_u32_e32 vcc, 0, v6
	ds_bpermute_b32 v3, v7, v3
	ds_bpermute_b32 v4, v7, v4
	s_and_saveexec_b64 s[2:3], vcc
	s_cbranch_execz .LBB7_3
; %bb.2:
	v_lshrrev_b32_e32 v7, 3, v0
	v_and_b32_e32 v7, 8, v7
	s_waitcnt lgkmcnt(0)
	ds_write_b64 v7, v[3:4]
.LBB7_3:
	s_or_b64 exec, exec, s[2:3]
	v_cmp_gt_u32_e32 vcc, 64, v0
	s_waitcnt lgkmcnt(0)
	s_barrier
	s_and_saveexec_b64 s[2:3], vcc
	s_cbranch_execz .LBB7_5
; %bb.4:
	v_and_b32_e32 v3, 1, v6
	v_lshlrev_b32_e32 v3, 3, v3
	ds_read_b64 v[3:4], v3
	v_or_b32_e32 v6, 4, v5
	s_waitcnt lgkmcnt(0)
	ds_bpermute_b32 v5, v6, v3
	ds_bpermute_b32 v6, v6, v4
	s_waitcnt lgkmcnt(0)
	v_add_f64 v[3:4], v[3:4], v[5:6]
.LBB7_5:
	s_or_b64 exec, exec, s[2:3]
	s_branch .LBB7_150
.LBB7_6:
                                        ; implicit-def: $vgpr3_vgpr4
	s_cbranch_execz .LBB7_150
; %bb.7:
	v_readlane_b32 s8, v132, 0
	v_readlane_b32 s10, v132, 2
	s_sub_i32 s33, s10, s0
	v_cmp_gt_u32_e32 vcc, s33, v0
	v_readlane_b32 s9, v132, 1
	v_readlane_b32 s11, v132, 3
	;; [unrolled: 1-line block ×6, first 2 shown]
                                        ; implicit-def: $vgpr3_vgpr4
	s_and_saveexec_b64 s[0:1], vcc
	s_cbranch_execz .LBB7_9
; %bb.8:
	global_load_dwordx2 v[3:4], v[1:2], off
.LBB7_9:
	s_or_b64 exec, exec, s[0:1]
	v_or_b32_e32 v5, 0x80, v0
	v_cmp_gt_u32_e64 s[2:3], s33, v5
                                        ; implicit-def: $vgpr5_vgpr6
	s_mov_b64 s[0:1], exec
	v_writelane_b32 v132, s2, 8
	v_writelane_b32 v132, s3, 9
	s_and_b64 s[2:3], s[0:1], s[2:3]
	s_mov_b64 exec, s[2:3]
	s_cbranch_execz .LBB7_11
; %bb.10:
	global_load_dwordx2 v[5:6], v[1:2], off offset:1024
.LBB7_11:
	s_or_b64 exec, exec, s[0:1]
	v_or_b32_e32 v7, 0x100, v0
	v_cmp_gt_u32_e64 s[2:3], s33, v7
                                        ; implicit-def: $vgpr7_vgpr8
	s_mov_b64 s[0:1], exec
	v_writelane_b32 v132, s2, 10
	v_writelane_b32 v132, s3, 11
	s_and_b64 s[2:3], s[0:1], s[2:3]
	s_mov_b64 exec, s[2:3]
	s_cbranch_execz .LBB7_13
; %bb.12:
	global_load_dwordx2 v[7:8], v[1:2], off offset:2048
.LBB7_13:
	s_or_b64 exec, exec, s[0:1]
	v_or_b32_e32 v9, 0x180, v0
	v_cmp_gt_u32_e64 s[2:3], s33, v9
                                        ; implicit-def: $vgpr9_vgpr10
	s_mov_b64 s[0:1], exec
	v_writelane_b32 v132, s2, 12
	v_writelane_b32 v132, s3, 13
	s_and_b64 s[2:3], s[0:1], s[2:3]
	s_mov_b64 exec, s[2:3]
	s_cbranch_execz .LBB7_15
; %bb.14:
	global_load_dwordx2 v[9:10], v[1:2], off offset:3072
.LBB7_15:
	s_or_b64 exec, exec, s[0:1]
	v_or_b32_e32 v11, 0x200, v0
	v_cmp_gt_u32_e64 s[2:3], s33, v11
                                        ; implicit-def: $vgpr11_vgpr12
	s_mov_b64 s[0:1], exec
	v_writelane_b32 v132, s2, 14
	v_writelane_b32 v132, s3, 15
	s_and_b64 s[2:3], s[0:1], s[2:3]
	s_mov_b64 exec, s[2:3]
	s_cbranch_execz .LBB7_17
; %bb.16:
	v_add_co_u32_e32 v11, vcc, 0x1000, v1
	v_addc_co_u32_e32 v12, vcc, 0, v2, vcc
	global_load_dwordx2 v[11:12], v[11:12], off
.LBB7_17:
	s_or_b64 exec, exec, s[0:1]
	v_or_b32_e32 v13, 0x280, v0
	v_cmp_gt_u32_e64 s[2:3], s33, v13
                                        ; implicit-def: $vgpr13_vgpr14
	s_mov_b64 s[0:1], exec
	v_writelane_b32 v132, s2, 16
	v_writelane_b32 v132, s3, 17
	s_and_b64 s[2:3], s[0:1], s[2:3]
	s_mov_b64 exec, s[2:3]
	s_cbranch_execz .LBB7_19
; %bb.18:
	v_add_co_u32_e32 v13, vcc, 0x1000, v1
	v_addc_co_u32_e32 v14, vcc, 0, v2, vcc
	global_load_dwordx2 v[13:14], v[13:14], off offset:1024
.LBB7_19:
	s_or_b64 exec, exec, s[0:1]
	v_or_b32_e32 v15, 0x300, v0
	v_cmp_gt_u32_e64 s[2:3], s33, v15
                                        ; implicit-def: $vgpr15_vgpr16
	s_mov_b64 s[0:1], exec
	v_writelane_b32 v132, s2, 18
	v_writelane_b32 v132, s3, 19
	s_and_b64 s[2:3], s[0:1], s[2:3]
	s_mov_b64 exec, s[2:3]
	s_cbranch_execz .LBB7_21
; %bb.20:
	v_add_co_u32_e32 v15, vcc, 0x1000, v1
	v_addc_co_u32_e32 v16, vcc, 0, v2, vcc
	global_load_dwordx2 v[15:16], v[15:16], off offset:2048
.LBB7_21:
	s_or_b64 exec, exec, s[0:1]
	v_or_b32_e32 v17, 0x380, v0
	v_cmp_gt_u32_e64 s[2:3], s33, v17
                                        ; implicit-def: $vgpr17_vgpr18
	s_mov_b64 s[0:1], exec
	v_writelane_b32 v132, s2, 20
	v_writelane_b32 v132, s3, 21
	s_and_b64 s[2:3], s[0:1], s[2:3]
	s_mov_b64 exec, s[2:3]
	s_cbranch_execz .LBB7_23
; %bb.22:
	v_add_co_u32_e32 v17, vcc, 0x1000, v1
	v_addc_co_u32_e32 v18, vcc, 0, v2, vcc
	global_load_dwordx2 v[17:18], v[17:18], off offset:3072
.LBB7_23:
	s_or_b64 exec, exec, s[0:1]
	v_or_b32_e32 v19, 0x400, v0
	v_cmp_gt_u32_e64 s[2:3], s33, v19
                                        ; implicit-def: $vgpr19_vgpr20
	s_mov_b64 s[0:1], exec
	v_writelane_b32 v132, s2, 22
	v_writelane_b32 v132, s3, 23
	s_and_b64 s[2:3], s[0:1], s[2:3]
	s_mov_b64 exec, s[2:3]
	s_cbranch_execz .LBB7_25
; %bb.24:
	v_add_co_u32_e32 v19, vcc, 0x2000, v1
	v_addc_co_u32_e32 v20, vcc, 0, v2, vcc
	global_load_dwordx2 v[19:20], v[19:20], off
.LBB7_25:
	s_or_b64 exec, exec, s[0:1]
	v_or_b32_e32 v21, 0x480, v0
	v_cmp_gt_u32_e64 s[2:3], s33, v21
                                        ; implicit-def: $vgpr21_vgpr22
	s_mov_b64 s[0:1], exec
	v_writelane_b32 v132, s2, 24
	v_writelane_b32 v132, s3, 25
	s_and_b64 s[2:3], s[0:1], s[2:3]
	s_mov_b64 exec, s[2:3]
	s_cbranch_execz .LBB7_27
; %bb.26:
	v_add_co_u32_e32 v21, vcc, 0x2000, v1
	v_addc_co_u32_e32 v22, vcc, 0, v2, vcc
	global_load_dwordx2 v[21:22], v[21:22], off offset:1024
.LBB7_27:
	s_or_b64 exec, exec, s[0:1]
	v_or_b32_e32 v23, 0x500, v0
	v_cmp_gt_u32_e64 s[2:3], s33, v23
                                        ; implicit-def: $vgpr23_vgpr24
	s_mov_b64 s[0:1], exec
	v_writelane_b32 v132, s2, 26
	v_writelane_b32 v132, s3, 27
	s_and_b64 s[2:3], s[0:1], s[2:3]
	s_mov_b64 exec, s[2:3]
	s_cbranch_execz .LBB7_29
; %bb.28:
	v_add_co_u32_e32 v23, vcc, 0x2000, v1
	v_addc_co_u32_e32 v24, vcc, 0, v2, vcc
	global_load_dwordx2 v[23:24], v[23:24], off offset:2048
.LBB7_29:
	s_or_b64 exec, exec, s[0:1]
	v_or_b32_e32 v25, 0x580, v0
	v_cmp_gt_u32_e64 s[2:3], s33, v25
                                        ; implicit-def: $vgpr25_vgpr26
	s_mov_b64 s[0:1], exec
	v_writelane_b32 v132, s2, 28
	v_writelane_b32 v132, s3, 29
	s_and_b64 s[2:3], s[0:1], s[2:3]
	s_mov_b64 exec, s[2:3]
	s_cbranch_execz .LBB7_31
; %bb.30:
	v_add_co_u32_e32 v25, vcc, 0x2000, v1
	v_addc_co_u32_e32 v26, vcc, 0, v2, vcc
	global_load_dwordx2 v[25:26], v[25:26], off offset:3072
.LBB7_31:
	s_or_b64 exec, exec, s[0:1]
	v_or_b32_e32 v27, 0x600, v0
	v_cmp_gt_u32_e64 s[2:3], s33, v27
                                        ; implicit-def: $vgpr27_vgpr28
	s_mov_b64 s[0:1], exec
	v_writelane_b32 v132, s2, 30
	v_writelane_b32 v132, s3, 31
	s_and_b64 s[2:3], s[0:1], s[2:3]
	s_mov_b64 exec, s[2:3]
	s_cbranch_execz .LBB7_33
; %bb.32:
	v_add_co_u32_e32 v27, vcc, 0x3000, v1
	v_addc_co_u32_e32 v28, vcc, 0, v2, vcc
	global_load_dwordx2 v[27:28], v[27:28], off
.LBB7_33:
	s_or_b64 exec, exec, s[0:1]
	v_or_b32_e32 v29, 0x680, v0
	v_cmp_gt_u32_e64 s[2:3], s33, v29
                                        ; implicit-def: $vgpr29_vgpr30
	s_mov_b64 s[0:1], exec
	v_writelane_b32 v132, s2, 32
	v_writelane_b32 v132, s3, 33
	s_and_b64 s[2:3], s[0:1], s[2:3]
	s_mov_b64 exec, s[2:3]
	s_cbranch_execz .LBB7_35
; %bb.34:
	v_add_co_u32_e32 v29, vcc, 0x3000, v1
	v_addc_co_u32_e32 v30, vcc, 0, v2, vcc
	global_load_dwordx2 v[29:30], v[29:30], off offset:1024
.LBB7_35:
	s_or_b64 exec, exec, s[0:1]
	v_or_b32_e32 v31, 0x700, v0
	v_cmp_gt_u32_e64 s[2:3], s33, v31
                                        ; implicit-def: $vgpr31_vgpr32
	s_mov_b64 s[0:1], exec
	v_writelane_b32 v132, s2, 34
	v_writelane_b32 v132, s3, 35
	s_and_b64 s[2:3], s[0:1], s[2:3]
	s_mov_b64 exec, s[2:3]
	s_cbranch_execz .LBB7_37
; %bb.36:
	v_add_co_u32_e32 v31, vcc, 0x3000, v1
	v_addc_co_u32_e32 v32, vcc, 0, v2, vcc
	global_load_dwordx2 v[31:32], v[31:32], off offset:2048
.LBB7_37:
	s_or_b64 exec, exec, s[0:1]
	v_or_b32_e32 v33, 0x780, v0
	v_cmp_gt_u32_e64 s[2:3], s33, v33
                                        ; implicit-def: $vgpr33_vgpr34
	s_mov_b64 s[0:1], exec
	v_writelane_b32 v132, s2, 36
	v_writelane_b32 v132, s3, 37
	s_and_b64 s[2:3], s[0:1], s[2:3]
	s_mov_b64 exec, s[2:3]
	s_cbranch_execz .LBB7_39
; %bb.38:
	v_add_co_u32_e32 v33, vcc, 0x3000, v1
	v_addc_co_u32_e32 v34, vcc, 0, v2, vcc
	global_load_dwordx2 v[33:34], v[33:34], off offset:3072
.LBB7_39:
	s_or_b64 exec, exec, s[0:1]
	v_or_b32_e32 v35, 0x800, v0
	v_cmp_gt_u32_e64 s[2:3], s33, v35
                                        ; implicit-def: $vgpr35_vgpr36
	s_mov_b64 s[0:1], exec
	v_writelane_b32 v132, s2, 38
	v_writelane_b32 v132, s3, 39
	s_and_b64 s[2:3], s[0:1], s[2:3]
	s_mov_b64 exec, s[2:3]
	s_cbranch_execz .LBB7_41
; %bb.40:
	v_add_co_u32_e32 v35, vcc, 0x4000, v1
	v_addc_co_u32_e32 v36, vcc, 0, v2, vcc
	global_load_dwordx2 v[35:36], v[35:36], off
.LBB7_41:
	s_or_b64 exec, exec, s[0:1]
	v_or_b32_e32 v37, 0x880, v0
	v_cmp_gt_u32_e64 s[2:3], s33, v37
                                        ; implicit-def: $vgpr37_vgpr38
	s_mov_b64 s[0:1], exec
	v_writelane_b32 v132, s2, 40
	v_writelane_b32 v132, s3, 41
	s_and_b64 s[2:3], s[0:1], s[2:3]
	s_mov_b64 exec, s[2:3]
	s_cbranch_execz .LBB7_43
; %bb.42:
	v_add_co_u32_e32 v37, vcc, 0x4000, v1
	v_addc_co_u32_e32 v38, vcc, 0, v2, vcc
	global_load_dwordx2 v[37:38], v[37:38], off offset:1024
.LBB7_43:
	s_or_b64 exec, exec, s[0:1]
	v_or_b32_e32 v39, 0x900, v0
	v_cmp_gt_u32_e64 s[2:3], s33, v39
                                        ; implicit-def: $vgpr39_vgpr40
	s_mov_b64 s[0:1], exec
	v_writelane_b32 v132, s2, 42
	v_writelane_b32 v132, s3, 43
	s_and_b64 s[2:3], s[0:1], s[2:3]
	s_mov_b64 exec, s[2:3]
	s_cbranch_execz .LBB7_45
; %bb.44:
	v_add_co_u32_e32 v39, vcc, 0x4000, v1
	v_addc_co_u32_e32 v40, vcc, 0, v2, vcc
	global_load_dwordx2 v[39:40], v[39:40], off offset:2048
.LBB7_45:
	s_or_b64 exec, exec, s[0:1]
	v_or_b32_e32 v41, 0x980, v0
	v_cmp_gt_u32_e64 s[40:41], s33, v41
                                        ; implicit-def: $vgpr41_vgpr42
	s_and_saveexec_b64 s[0:1], s[40:41]
	s_cbranch_execz .LBB7_47
; %bb.46:
	v_add_co_u32_e32 v41, vcc, 0x4000, v1
	v_addc_co_u32_e32 v42, vcc, 0, v2, vcc
	global_load_dwordx2 v[41:42], v[41:42], off offset:3072
.LBB7_47:
	s_or_b64 exec, exec, s[0:1]
	v_or_b32_e32 v43, 0xa00, v0
	v_cmp_gt_u32_e64 s[42:43], s33, v43
                                        ; implicit-def: $vgpr43_vgpr44
	s_and_saveexec_b64 s[0:1], s[42:43]
	s_cbranch_execz .LBB7_49
; %bb.48:
	v_add_co_u32_e32 v43, vcc, 0x5000, v1
	v_addc_co_u32_e32 v44, vcc, 0, v2, vcc
	global_load_dwordx2 v[43:44], v[43:44], off
.LBB7_49:
	s_or_b64 exec, exec, s[0:1]
	v_or_b32_e32 v45, 0xa80, v0
	v_cmp_gt_u32_e64 s[44:45], s33, v45
                                        ; implicit-def: $vgpr45_vgpr46
	s_and_saveexec_b64 s[0:1], s[44:45]
	s_cbranch_execz .LBB7_51
; %bb.50:
	v_add_co_u32_e32 v45, vcc, 0x5000, v1
	v_addc_co_u32_e32 v46, vcc, 0, v2, vcc
	global_load_dwordx2 v[45:46], v[45:46], off offset:1024
.LBB7_51:
	s_or_b64 exec, exec, s[0:1]
	v_or_b32_e32 v47, 0xb00, v0
	v_cmp_gt_u32_e64 s[46:47], s33, v47
                                        ; implicit-def: $vgpr47_vgpr48
	s_and_saveexec_b64 s[0:1], s[46:47]
	s_cbranch_execz .LBB7_53
; %bb.52:
	v_add_co_u32_e32 v47, vcc, 0x5000, v1
	v_addc_co_u32_e32 v48, vcc, 0, v2, vcc
	global_load_dwordx2 v[47:48], v[47:48], off offset:2048
.LBB7_53:
	s_or_b64 exec, exec, s[0:1]
	v_or_b32_e32 v49, 0xb80, v0
	v_cmp_gt_u32_e64 s[48:49], s33, v49
                                        ; implicit-def: $vgpr49_vgpr50
	s_and_saveexec_b64 s[0:1], s[48:49]
	s_cbranch_execz .LBB7_55
; %bb.54:
	v_add_co_u32_e32 v49, vcc, 0x5000, v1
	v_addc_co_u32_e32 v50, vcc, 0, v2, vcc
	global_load_dwordx2 v[49:50], v[49:50], off offset:3072
.LBB7_55:
	s_or_b64 exec, exec, s[0:1]
	v_or_b32_e32 v51, 0xc00, v0
	v_cmp_gt_u32_e64 s[50:51], s33, v51
                                        ; implicit-def: $vgpr51_vgpr52
	s_and_saveexec_b64 s[0:1], s[50:51]
	s_cbranch_execz .LBB7_57
; %bb.56:
	v_add_co_u32_e32 v51, vcc, 0x6000, v1
	v_addc_co_u32_e32 v52, vcc, 0, v2, vcc
	global_load_dwordx2 v[51:52], v[51:52], off
.LBB7_57:
	s_or_b64 exec, exec, s[0:1]
	v_or_b32_e32 v53, 0xc80, v0
	v_cmp_gt_u32_e64 s[52:53], s33, v53
                                        ; implicit-def: $vgpr53_vgpr54
	s_and_saveexec_b64 s[0:1], s[52:53]
	s_cbranch_execz .LBB7_59
; %bb.58:
	v_add_co_u32_e32 v53, vcc, 0x6000, v1
	v_addc_co_u32_e32 v54, vcc, 0, v2, vcc
	global_load_dwordx2 v[53:54], v[53:54], off offset:1024
.LBB7_59:
	s_or_b64 exec, exec, s[0:1]
	v_or_b32_e32 v55, 0xd00, v0
	v_cmp_gt_u32_e64 s[54:55], s33, v55
                                        ; implicit-def: $vgpr55_vgpr56
	s_and_saveexec_b64 s[0:1], s[54:55]
	s_cbranch_execz .LBB7_61
; %bb.60:
	v_add_co_u32_e32 v55, vcc, 0x6000, v1
	v_addc_co_u32_e32 v56, vcc, 0, v2, vcc
	global_load_dwordx2 v[55:56], v[55:56], off offset:2048
.LBB7_61:
	s_or_b64 exec, exec, s[0:1]
	v_or_b32_e32 v57, 0xd80, v0
	v_cmp_gt_u32_e64 s[56:57], s33, v57
                                        ; implicit-def: $vgpr57_vgpr58
	s_and_saveexec_b64 s[0:1], s[56:57]
	s_cbranch_execz .LBB7_63
; %bb.62:
	v_add_co_u32_e32 v57, vcc, 0x6000, v1
	v_addc_co_u32_e32 v58, vcc, 0, v2, vcc
	global_load_dwordx2 v[57:58], v[57:58], off offset:3072
.LBB7_63:
	s_or_b64 exec, exec, s[0:1]
	v_or_b32_e32 v59, 0xe00, v0
	v_cmp_gt_u32_e64 s[58:59], s33, v59
                                        ; implicit-def: $vgpr59_vgpr60
	s_and_saveexec_b64 s[0:1], s[58:59]
	s_cbranch_execz .LBB7_65
; %bb.64:
	v_add_co_u32_e32 v59, vcc, 0x7000, v1
	v_addc_co_u32_e32 v60, vcc, 0, v2, vcc
	global_load_dwordx2 v[59:60], v[59:60], off
.LBB7_65:
	s_or_b64 exec, exec, s[0:1]
	v_or_b32_e32 v61, 0xe80, v0
	v_cmp_gt_u32_e64 s[60:61], s33, v61
                                        ; implicit-def: $vgpr61_vgpr62
	s_and_saveexec_b64 s[0:1], s[60:61]
	s_cbranch_execz .LBB7_67
; %bb.66:
	v_add_co_u32_e32 v61, vcc, 0x7000, v1
	v_addc_co_u32_e32 v62, vcc, 0, v2, vcc
	global_load_dwordx2 v[61:62], v[61:62], off offset:1024
.LBB7_67:
	s_or_b64 exec, exec, s[0:1]
	v_or_b32_e32 v63, 0xf00, v0
	v_cmp_gt_u32_e64 s[62:63], s33, v63
                                        ; implicit-def: $vgpr63_vgpr64
	s_and_saveexec_b64 s[0:1], s[62:63]
	s_cbranch_execz .LBB7_69
; %bb.68:
	v_add_co_u32_e32 v63, vcc, 0x7000, v1
	v_addc_co_u32_e32 v64, vcc, 0, v2, vcc
	global_load_dwordx2 v[63:64], v[63:64], off offset:2048
.LBB7_69:
	s_or_b64 exec, exec, s[0:1]
	v_or_b32_e32 v65, 0xf80, v0
	v_cmp_gt_u32_e64 s[64:65], s33, v65
                                        ; implicit-def: $vgpr65_vgpr66
	s_and_saveexec_b64 s[0:1], s[64:65]
	s_cbranch_execz .LBB7_71
; %bb.70:
	v_add_co_u32_e32 v65, vcc, 0x7000, v1
	v_addc_co_u32_e32 v66, vcc, 0, v2, vcc
	global_load_dwordx2 v[65:66], v[65:66], off offset:3072
.LBB7_71:
	s_or_b64 exec, exec, s[0:1]
	v_or_b32_e32 v67, 0x1000, v0
	v_cmp_gt_u32_e64 s[66:67], s33, v67
                                        ; implicit-def: $vgpr67_vgpr68
	s_and_saveexec_b64 s[0:1], s[66:67]
	s_cbranch_execz .LBB7_73
; %bb.72:
	v_add_co_u32_e32 v67, vcc, 0x8000, v1
	v_addc_co_u32_e32 v68, vcc, 0, v2, vcc
	global_load_dwordx2 v[67:68], v[67:68], off
.LBB7_73:
	s_or_b64 exec, exec, s[0:1]
	v_or_b32_e32 v69, 0x1080, v0
	v_cmp_gt_u32_e64 s[68:69], s33, v69
                                        ; implicit-def: $vgpr69_vgpr70
	s_and_saveexec_b64 s[0:1], s[68:69]
	s_cbranch_execz .LBB7_75
; %bb.74:
	v_add_co_u32_e32 v69, vcc, 0x8000, v1
	v_addc_co_u32_e32 v70, vcc, 0, v2, vcc
	global_load_dwordx2 v[69:70], v[69:70], off offset:1024
.LBB7_75:
	s_or_b64 exec, exec, s[0:1]
	v_or_b32_e32 v71, 0x1100, v0
	v_cmp_gt_u32_e64 s[70:71], s33, v71
                                        ; implicit-def: $vgpr71_vgpr72
	s_and_saveexec_b64 s[0:1], s[70:71]
	s_cbranch_execz .LBB7_77
; %bb.76:
	v_add_co_u32_e32 v71, vcc, 0x8000, v1
	v_addc_co_u32_e32 v72, vcc, 0, v2, vcc
	global_load_dwordx2 v[71:72], v[71:72], off offset:2048
.LBB7_77:
	s_or_b64 exec, exec, s[0:1]
	v_or_b32_e32 v73, 0x1180, v0
	v_cmp_gt_u32_e64 s[72:73], s33, v73
                                        ; implicit-def: $vgpr73_vgpr74
	s_and_saveexec_b64 s[0:1], s[72:73]
	s_cbranch_execz .LBB7_79
; %bb.78:
	v_add_co_u32_e32 v73, vcc, 0x8000, v1
	v_addc_co_u32_e32 v74, vcc, 0, v2, vcc
	global_load_dwordx2 v[73:74], v[73:74], off offset:3072
.LBB7_79:
	s_or_b64 exec, exec, s[0:1]
	v_or_b32_e32 v75, 0x1200, v0
	v_cmp_gt_u32_e64 s[74:75], s33, v75
                                        ; implicit-def: $vgpr75_vgpr76
	s_and_saveexec_b64 s[0:1], s[74:75]
	s_cbranch_execz .LBB7_81
; %bb.80:
	v_add_co_u32_e32 v75, vcc, 0x9000, v1
	v_addc_co_u32_e32 v76, vcc, 0, v2, vcc
	global_load_dwordx2 v[75:76], v[75:76], off
.LBB7_81:
	s_or_b64 exec, exec, s[0:1]
	v_or_b32_e32 v77, 0x1280, v0
	v_cmp_gt_u32_e64 s[76:77], s33, v77
                                        ; implicit-def: $vgpr77_vgpr78
	s_and_saveexec_b64 s[0:1], s[76:77]
	s_cbranch_execz .LBB7_83
; %bb.82:
	v_add_co_u32_e32 v77, vcc, 0x9000, v1
	v_addc_co_u32_e32 v78, vcc, 0, v2, vcc
	global_load_dwordx2 v[77:78], v[77:78], off offset:1024
.LBB7_83:
	s_or_b64 exec, exec, s[0:1]
	v_or_b32_e32 v79, 0x1300, v0
	v_cmp_gt_u32_e64 s[78:79], s33, v79
                                        ; implicit-def: $vgpr79_vgpr80
	s_and_saveexec_b64 s[0:1], s[78:79]
	s_cbranch_execz .LBB7_85
; %bb.84:
	v_add_co_u32_e32 v79, vcc, 0x9000, v1
	v_addc_co_u32_e32 v80, vcc, 0, v2, vcc
	global_load_dwordx2 v[79:80], v[79:80], off offset:2048
.LBB7_85:
	s_or_b64 exec, exec, s[0:1]
	v_or_b32_e32 v81, 0x1380, v0
	v_cmp_gt_u32_e64 s[80:81], s33, v81
                                        ; implicit-def: $vgpr81_vgpr82
	s_and_saveexec_b64 s[0:1], s[80:81]
	s_cbranch_execz .LBB7_87
; %bb.86:
	v_add_co_u32_e32 v81, vcc, 0x9000, v1
	v_addc_co_u32_e32 v82, vcc, 0, v2, vcc
	global_load_dwordx2 v[81:82], v[81:82], off offset:3072
.LBB7_87:
	s_or_b64 exec, exec, s[0:1]
	v_or_b32_e32 v83, 0x1400, v0
	v_cmp_gt_u32_e64 s[82:83], s33, v83
                                        ; implicit-def: $vgpr83_vgpr84
	s_and_saveexec_b64 s[0:1], s[82:83]
	s_cbranch_execz .LBB7_89
; %bb.88:
	v_add_co_u32_e32 v83, vcc, 0xa000, v1
	v_addc_co_u32_e32 v84, vcc, 0, v2, vcc
	global_load_dwordx2 v[83:84], v[83:84], off
.LBB7_89:
	s_or_b64 exec, exec, s[0:1]
	v_or_b32_e32 v85, 0x1480, v0
	v_cmp_gt_u32_e64 s[84:85], s33, v85
                                        ; implicit-def: $vgpr85_vgpr86
	s_and_saveexec_b64 s[0:1], s[84:85]
	s_cbranch_execz .LBB7_91
; %bb.90:
	v_add_co_u32_e32 v85, vcc, 0xa000, v1
	v_addc_co_u32_e32 v86, vcc, 0, v2, vcc
	global_load_dwordx2 v[85:86], v[85:86], off offset:1024
.LBB7_91:
	s_or_b64 exec, exec, s[0:1]
	v_or_b32_e32 v87, 0x1500, v0
	v_cmp_gt_u32_e64 s[86:87], s33, v87
                                        ; implicit-def: $vgpr87_vgpr88
	s_and_saveexec_b64 s[0:1], s[86:87]
	s_cbranch_execz .LBB7_93
; %bb.92:
	v_add_co_u32_e32 v87, vcc, 0xa000, v1
	v_addc_co_u32_e32 v88, vcc, 0, v2, vcc
	global_load_dwordx2 v[87:88], v[87:88], off offset:2048
.LBB7_93:
	s_or_b64 exec, exec, s[0:1]
	v_or_b32_e32 v89, 0x1580, v0
	v_cmp_gt_u32_e64 s[88:89], s33, v89
                                        ; implicit-def: $vgpr89_vgpr90
	s_and_saveexec_b64 s[0:1], s[88:89]
	s_cbranch_execz .LBB7_95
; %bb.94:
	v_add_co_u32_e32 v89, vcc, 0xa000, v1
	v_addc_co_u32_e32 v90, vcc, 0, v2, vcc
	global_load_dwordx2 v[89:90], v[89:90], off offset:3072
.LBB7_95:
	s_or_b64 exec, exec, s[0:1]
	v_or_b32_e32 v91, 0x1600, v0
	v_cmp_gt_u32_e64 s[90:91], s33, v91
                                        ; implicit-def: $vgpr91_vgpr92
	s_and_saveexec_b64 s[0:1], s[90:91]
	s_cbranch_execz .LBB7_97
; %bb.96:
	v_add_co_u32_e32 v91, vcc, 0xb000, v1
	v_addc_co_u32_e32 v92, vcc, 0, v2, vcc
	global_load_dwordx2 v[91:92], v[91:92], off
.LBB7_97:
	s_or_b64 exec, exec, s[0:1]
	v_or_b32_e32 v93, 0x1680, v0
	v_cmp_gt_u32_e64 s[92:93], s33, v93
                                        ; implicit-def: $vgpr93_vgpr94
	s_and_saveexec_b64 s[0:1], s[92:93]
	s_cbranch_execz .LBB7_99
; %bb.98:
	v_add_co_u32_e32 v93, vcc, 0xb000, v1
	v_addc_co_u32_e32 v94, vcc, 0, v2, vcc
	global_load_dwordx2 v[93:94], v[93:94], off offset:1024
.LBB7_99:
	s_or_b64 exec, exec, s[0:1]
	v_or_b32_e32 v95, 0x1700, v0
	v_cmp_gt_u32_e64 s[94:95], s33, v95
                                        ; implicit-def: $vgpr95_vgpr96
	s_and_saveexec_b64 s[0:1], s[94:95]
	s_cbranch_execz .LBB7_101
; %bb.100:
	v_add_co_u32_e32 v95, vcc, 0xb000, v1
	v_addc_co_u32_e32 v96, vcc, 0, v2, vcc
	global_load_dwordx2 v[95:96], v[95:96], off offset:2048
.LBB7_101:
	s_or_b64 exec, exec, s[0:1]
	v_or_b32_e32 v97, 0x1780, v0
	v_cmp_gt_u32_e64 s[0:1], s33, v97
                                        ; implicit-def: $vgpr97_vgpr98
	s_and_saveexec_b64 s[2:3], s[0:1]
	s_cbranch_execz .LBB7_103
; %bb.102:
	v_add_co_u32_e32 v97, vcc, 0xb000, v1
	v_addc_co_u32_e32 v98, vcc, 0, v2, vcc
	global_load_dwordx2 v[97:98], v[97:98], off offset:3072
.LBB7_103:
	s_or_b64 exec, exec, s[2:3]
	v_or_b32_e32 v99, 0x1800, v0
	v_cmp_gt_u32_e64 s[2:3], s33, v99
                                        ; implicit-def: $vgpr99_vgpr100
	s_and_saveexec_b64 s[4:5], s[2:3]
	s_cbranch_execz .LBB7_105
; %bb.104:
	v_add_co_u32_e32 v99, vcc, 0xc000, v1
	v_addc_co_u32_e32 v100, vcc, 0, v2, vcc
	global_load_dwordx2 v[99:100], v[99:100], off
.LBB7_105:
	s_or_b64 exec, exec, s[4:5]
	v_or_b32_e32 v101, 0x1880, v0
	v_cmp_gt_u32_e64 s[4:5], s33, v101
                                        ; implicit-def: $vgpr101_vgpr102
	s_and_saveexec_b64 s[8:9], s[4:5]
	s_cbranch_execz .LBB7_107
; %bb.106:
	v_add_co_u32_e32 v101, vcc, 0xc000, v1
	v_addc_co_u32_e32 v102, vcc, 0, v2, vcc
	global_load_dwordx2 v[101:102], v[101:102], off offset:1024
.LBB7_107:
	s_or_b64 exec, exec, s[8:9]
	v_or_b32_e32 v103, 0x1900, v0
	v_cmp_gt_u32_e64 s[8:9], s33, v103
                                        ; implicit-def: $vgpr103_vgpr104
	s_and_saveexec_b64 s[10:11], s[8:9]
	s_cbranch_execz .LBB7_109
; %bb.108:
	v_add_co_u32_e32 v103, vcc, 0xc000, v1
	v_addc_co_u32_e32 v104, vcc, 0, v2, vcc
	global_load_dwordx2 v[103:104], v[103:104], off offset:2048
.LBB7_109:
	s_or_b64 exec, exec, s[10:11]
	v_or_b32_e32 v105, 0x1980, v0
	v_cmp_gt_u32_e64 s[10:11], s33, v105
                                        ; implicit-def: $vgpr105_vgpr106
	s_and_saveexec_b64 s[12:13], s[10:11]
	s_cbranch_execz .LBB7_111
; %bb.110:
	v_add_co_u32_e32 v105, vcc, 0xc000, v1
	v_addc_co_u32_e32 v106, vcc, 0, v2, vcc
	global_load_dwordx2 v[105:106], v[105:106], off offset:3072
.LBB7_111:
	s_or_b64 exec, exec, s[12:13]
	v_or_b32_e32 v107, 0x1a00, v0
	v_cmp_gt_u32_e64 s[12:13], s33, v107
                                        ; implicit-def: $vgpr107_vgpr108
	s_and_saveexec_b64 s[14:15], s[12:13]
	s_cbranch_execz .LBB7_113
; %bb.112:
	v_add_co_u32_e32 v107, vcc, 0xd000, v1
	v_addc_co_u32_e32 v108, vcc, 0, v2, vcc
	global_load_dwordx2 v[107:108], v[107:108], off
.LBB7_113:
	s_or_b64 exec, exec, s[14:15]
	v_or_b32_e32 v109, 0x1a80, v0
	v_cmp_gt_u32_e64 s[14:15], s33, v109
                                        ; implicit-def: $vgpr109_vgpr110
	s_and_saveexec_b64 s[16:17], s[14:15]
	s_cbranch_execz .LBB7_115
; %bb.114:
	v_add_co_u32_e32 v109, vcc, 0xd000, v1
	v_addc_co_u32_e32 v110, vcc, 0, v2, vcc
	global_load_dwordx2 v[109:110], v[109:110], off offset:1024
.LBB7_115:
	s_or_b64 exec, exec, s[16:17]
	v_or_b32_e32 v111, 0x1b00, v0
	v_cmp_gt_u32_e64 s[16:17], s33, v111
                                        ; implicit-def: $vgpr111_vgpr112
	s_and_saveexec_b64 s[18:19], s[16:17]
	s_cbranch_execz .LBB7_117
; %bb.116:
	v_add_co_u32_e32 v111, vcc, 0xd000, v1
	v_addc_co_u32_e32 v112, vcc, 0, v2, vcc
	global_load_dwordx2 v[111:112], v[111:112], off offset:2048
.LBB7_117:
	s_or_b64 exec, exec, s[18:19]
	v_or_b32_e32 v113, 0x1b80, v0
	v_cmp_gt_u32_e64 s[18:19], s33, v113
                                        ; implicit-def: $vgpr113_vgpr114
	s_and_saveexec_b64 s[20:21], s[18:19]
	s_cbranch_execz .LBB7_119
; %bb.118:
	v_add_co_u32_e32 v113, vcc, 0xd000, v1
	v_addc_co_u32_e32 v114, vcc, 0, v2, vcc
	global_load_dwordx2 v[113:114], v[113:114], off offset:3072
.LBB7_119:
	s_or_b64 exec, exec, s[20:21]
	v_or_b32_e32 v115, 0x1c00, v0
	v_cmp_gt_u32_e64 s[20:21], s33, v115
                                        ; implicit-def: $vgpr115_vgpr116
	s_and_saveexec_b64 s[22:23], s[20:21]
	s_cbranch_execz .LBB7_121
; %bb.120:
	v_add_co_u32_e32 v115, vcc, 0xe000, v1
	v_addc_co_u32_e32 v116, vcc, 0, v2, vcc
	global_load_dwordx2 v[115:116], v[115:116], off
.LBB7_121:
	s_or_b64 exec, exec, s[22:23]
	v_or_b32_e32 v117, 0x1c80, v0
	v_cmp_gt_u32_e64 s[22:23], s33, v117
                                        ; implicit-def: $vgpr117_vgpr118
	s_and_saveexec_b64 s[24:25], s[22:23]
	s_cbranch_execz .LBB7_123
; %bb.122:
	v_add_co_u32_e32 v117, vcc, 0xe000, v1
	v_addc_co_u32_e32 v118, vcc, 0, v2, vcc
	global_load_dwordx2 v[117:118], v[117:118], off offset:1024
.LBB7_123:
	s_or_b64 exec, exec, s[24:25]
	v_or_b32_e32 v119, 0x1d00, v0
	v_cmp_gt_u32_e64 s[24:25], s33, v119
                                        ; implicit-def: $vgpr119_vgpr120
	s_and_saveexec_b64 s[26:27], s[24:25]
	s_cbranch_execz .LBB7_125
; %bb.124:
	v_add_co_u32_e32 v119, vcc, 0xe000, v1
	v_addc_co_u32_e32 v120, vcc, 0, v2, vcc
	global_load_dwordx2 v[119:120], v[119:120], off offset:2048
.LBB7_125:
	s_or_b64 exec, exec, s[26:27]
	v_or_b32_e32 v121, 0x1d80, v0
	v_cmp_gt_u32_e64 s[26:27], s33, v121
                                        ; implicit-def: $vgpr121_vgpr122
	s_and_saveexec_b64 s[28:29], s[26:27]
	s_cbranch_execz .LBB7_127
; %bb.126:
	v_add_co_u32_e32 v121, vcc, 0xe000, v1
	v_addc_co_u32_e32 v122, vcc, 0, v2, vcc
	global_load_dwordx2 v[121:122], v[121:122], off offset:3072
.LBB7_127:
	s_or_b64 exec, exec, s[28:29]
	v_or_b32_e32 v123, 0x1e00, v0
	v_cmp_gt_u32_e64 s[28:29], s33, v123
                                        ; implicit-def: $vgpr123_vgpr124
	s_and_saveexec_b64 s[30:31], s[28:29]
	s_cbranch_execz .LBB7_129
; %bb.128:
	v_add_co_u32_e32 v123, vcc, 0xf000, v1
	v_addc_co_u32_e32 v124, vcc, 0, v2, vcc
	global_load_dwordx2 v[123:124], v[123:124], off
.LBB7_129:
	s_or_b64 exec, exec, s[30:31]
	v_or_b32_e32 v125, 0x1e80, v0
	v_cmp_gt_u32_e64 s[30:31], s33, v125
                                        ; implicit-def: $vgpr125_vgpr126
	s_and_saveexec_b64 s[34:35], s[30:31]
	s_cbranch_execz .LBB7_131
; %bb.130:
	v_add_co_u32_e32 v125, vcc, 0xf000, v1
	v_addc_co_u32_e32 v126, vcc, 0, v2, vcc
	global_load_dwordx2 v[125:126], v[125:126], off offset:1024
.LBB7_131:
	s_or_b64 exec, exec, s[34:35]
	v_or_b32_e32 v127, 0x1f00, v0
	v_cmp_gt_u32_e64 s[34:35], s33, v127
                                        ; implicit-def: $vgpr127_vgpr128
	s_and_saveexec_b64 s[36:37], s[34:35]
	s_cbranch_execz .LBB7_133
; %bb.132:
	v_add_co_u32_e32 v127, vcc, 0xf000, v1
	v_addc_co_u32_e32 v128, vcc, 0, v2, vcc
	global_load_dwordx2 v[127:128], v[127:128], off offset:2048
.LBB7_133:
	s_or_b64 exec, exec, s[36:37]
	v_or_b32_e32 v129, 0x1f80, v0
	v_cmp_gt_u32_e64 s[36:37], s33, v129
                                        ; implicit-def: $vgpr129_vgpr130
	s_and_saveexec_b64 s[38:39], s[36:37]
	s_cbranch_execz .LBB7_135
; %bb.134:
	v_add_co_u32_e32 v1, vcc, 0xf000, v1
	v_addc_co_u32_e32 v2, vcc, 0, v2, vcc
	global_load_dwordx2 v[129:130], v[1:2], off offset:3072
.LBB7_135:
	s_or_b64 exec, exec, s[38:39]
	s_waitcnt vmcnt(0)
	v_add_f64 v[1:2], v[3:4], v[5:6]
	v_readlane_b32 s38, v132, 8
	v_readlane_b32 s39, v132, 9
	v_mbcnt_hi_u32_b32 v5, -1, v131
	v_cndmask_b32_e64 v2, v4, v2, s[38:39]
	v_cndmask_b32_e64 v1, v3, v1, s[38:39]
	v_add_f64 v[3:4], v[1:2], v[7:8]
	v_readlane_b32 s38, v132, 10
	v_readlane_b32 s39, v132, 11
	v_and_b32_e32 v7, 63, v5
	v_cmp_ne_u32_e32 vcc, 63, v7
	v_addc_co_u32_e32 v6, vcc, 0, v5, vcc
	v_lshlrev_b32_e32 v6, 2, v6
	v_cndmask_b32_e64 v2, v2, v4, s[38:39]
	v_cndmask_b32_e64 v1, v1, v3, s[38:39]
	v_add_f64 v[3:4], v[1:2], v[9:10]
	v_readlane_b32 s38, v132, 12
	v_readlane_b32 s39, v132, 13
	v_add_u32_e32 v8, 1, v5
	v_cndmask_b32_e64 v2, v2, v4, s[38:39]
	v_cndmask_b32_e64 v1, v1, v3, s[38:39]
	v_add_f64 v[3:4], v[1:2], v[11:12]
	v_readlane_b32 s38, v132, 14
	v_readlane_b32 s39, v132, 15
	v_cndmask_b32_e64 v2, v2, v4, s[38:39]
	v_cndmask_b32_e64 v1, v1, v3, s[38:39]
	v_add_f64 v[3:4], v[1:2], v[13:14]
	v_readlane_b32 s38, v132, 16
	v_readlane_b32 s39, v132, 17
	;; [unrolled: 5-line block ×15, first 2 shown]
	v_cndmask_b32_e64 v2, v2, v4, s[38:39]
	v_cndmask_b32_e64 v1, v1, v3, s[38:39]
	v_add_f64 v[3:4], v[1:2], v[41:42]
	v_cndmask_b32_e64 v2, v2, v4, s[40:41]
	v_cndmask_b32_e64 v1, v1, v3, s[40:41]
	v_add_f64 v[3:4], v[1:2], v[43:44]
	;; [unrolled: 3-line block ×31, first 2 shown]
	s_min_u32 s2, s33, 0x80
	v_cndmask_b32_e64 v2, v2, v4, s[4:5]
	v_cndmask_b32_e64 v1, v1, v3, s[4:5]
	v_add_f64 v[3:4], v[1:2], v[103:104]
	v_cndmask_b32_e64 v2, v2, v4, s[8:9]
	v_cndmask_b32_e64 v1, v1, v3, s[8:9]
	v_add_f64 v[3:4], v[1:2], v[105:106]
	;; [unrolled: 3-line block ×14, first 2 shown]
	v_cndmask_b32_e64 v2, v2, v4, s[36:37]
	v_cndmask_b32_e64 v1, v1, v3, s[36:37]
	ds_bpermute_b32 v3, v6, v1
	ds_bpermute_b32 v4, v6, v2
	v_and_b32_e32 v6, 64, v0
	v_sub_u32_e64 v6, s2, v6 clamp
	v_cmp_lt_u32_e32 vcc, v8, v6
	s_and_saveexec_b64 s[0:1], vcc
	s_cbranch_execz .LBB7_137
; %bb.136:
	s_waitcnt lgkmcnt(0)
	v_add_f64 v[1:2], v[1:2], v[3:4]
.LBB7_137:
	s_or_b64 exec, exec, s[0:1]
	v_cmp_gt_u32_e32 vcc, 62, v7
	s_waitcnt lgkmcnt(1)
	v_cndmask_b32_e64 v3, 0, 1, vcc
	v_lshlrev_b32_e32 v3, 1, v3
	s_waitcnt lgkmcnt(0)
	v_add_lshl_u32 v4, v3, v5, 2
	ds_bpermute_b32 v3, v4, v1
	ds_bpermute_b32 v4, v4, v2
	v_add_u32_e32 v8, 2, v5
	v_cmp_lt_u32_e32 vcc, v8, v6
	s_and_saveexec_b64 s[0:1], vcc
	s_cbranch_execz .LBB7_139
; %bb.138:
	s_waitcnt lgkmcnt(0)
	v_add_f64 v[1:2], v[1:2], v[3:4]
.LBB7_139:
	s_or_b64 exec, exec, s[0:1]
	v_cmp_gt_u32_e32 vcc, 60, v7
	s_waitcnt lgkmcnt(1)
	v_cndmask_b32_e64 v3, 0, 1, vcc
	v_lshlrev_b32_e32 v3, 2, v3
	s_waitcnt lgkmcnt(0)
	v_add_lshl_u32 v4, v3, v5, 2
	ds_bpermute_b32 v3, v4, v1
	ds_bpermute_b32 v4, v4, v2
	v_add_u32_e32 v8, 4, v5
	;; [unrolled: 17-line block ×5, first 2 shown]
	v_cmp_lt_u32_e32 vcc, v7, v6
	s_waitcnt lgkmcnt(0)
	v_add_f64 v[3:4], v[1:2], v[3:4]
	v_cndmask_b32_e32 v4, v2, v4, vcc
	v_cndmask_b32_e32 v3, v1, v3, vcc
	v_cmp_eq_u32_e32 vcc, 0, v5
	s_and_saveexec_b64 s[0:1], vcc
	s_cbranch_execz .LBB7_147
; %bb.146:
	v_lshrrev_b32_e32 v1, 3, v0
	v_and_b32_e32 v1, 8, v1
	ds_write_b64 v1, v[3:4] offset:16
.LBB7_147:
	s_or_b64 exec, exec, s[0:1]
	v_cmp_gt_u32_e32 vcc, 2, v0
	s_waitcnt lgkmcnt(0)
	s_barrier
	s_and_saveexec_b64 s[0:1], vcc
	s_cbranch_execz .LBB7_149
; %bb.148:
	v_lshlrev_b32_e32 v1, 3, v5
	ds_read_b64 v[1:2], v1 offset:16
	v_lshl_or_b32 v4, v5, 2, 4
	s_add_i32 s2, s2, 63
	v_and_b32_e32 v5, 1, v5
	s_lshr_b32 s2, s2, 6
	s_waitcnt lgkmcnt(0)
	ds_bpermute_b32 v3, v4, v1
	ds_bpermute_b32 v4, v4, v2
	v_add_u32_e32 v5, 1, v5
	v_cmp_gt_u32_e32 vcc, s2, v5
	s_waitcnt lgkmcnt(0)
	v_add_f64 v[3:4], v[1:2], v[3:4]
	v_cndmask_b32_e32 v4, v2, v4, vcc
	v_cndmask_b32_e32 v3, v1, v3, vcc
.LBB7_149:
	s_or_b64 exec, exec, s[0:1]
.LBB7_150:
	v_cmp_eq_u32_e32 vcc, 0, v0
	s_and_saveexec_b64 s[0:1], vcc
	s_cbranch_execnz .LBB7_152
; %bb.151:
	s_endpgm
.LBB7_152:
	v_readlane_b32 s8, v132, 0
	v_readlane_b32 s14, v132, 6
	;; [unrolled: 1-line block ×3, first 2 shown]
	v_add_f64 v[0:1], v[3:4], s[14:15]
	v_readlane_b32 s12, v132, 4
	s_lshl_b64 s[0:1], s[6:7], 3
	v_readlane_b32 s13, v132, 5
	s_add_u32 s0, s12, s0
	v_readlane_b32 s10, v132, 2
	v_readlane_b32 s11, v132, 3
	s_addc_u32 s1, s13, s1
	s_cmp_eq_u64 s[10:11], 0
	v_mov_b32_e32 v3, s15
	s_cselect_b64 vcc, -1, 0
	v_cndmask_b32_e32 v1, v1, v3, vcc
	v_mov_b32_e32 v3, s14
	v_mov_b32_e32 v2, 0
	v_cndmask_b32_e32 v0, v0, v3, vcc
	v_readlane_b32 s9, v132, 1
	global_store_dwordx2 v2, v[0:1], s[0:1]
	s_endpgm
	.section	.rodata,"a",@progbits
	.p2align	6, 0x0
	.amdhsa_kernel _ZN7rocprim6detail19block_reduce_kernelILb1ELb1ELj16ENS0_21wrapped_reduce_configINS_14default_configEdEEdPdS5_dN6thrust4plusIdEEEEvT4_mT5_T6_T7_
		.amdhsa_group_segment_fixed_size 32
		.amdhsa_private_segment_fixed_size 0
		.amdhsa_kernarg_size 36
		.amdhsa_user_sgpr_count 6
		.amdhsa_user_sgpr_private_segment_buffer 1
		.amdhsa_user_sgpr_dispatch_ptr 0
		.amdhsa_user_sgpr_queue_ptr 0
		.amdhsa_user_sgpr_kernarg_segment_ptr 1
		.amdhsa_user_sgpr_dispatch_id 0
		.amdhsa_user_sgpr_flat_scratch_init 0
		.amdhsa_user_sgpr_private_segment_size 0
		.amdhsa_uses_dynamic_stack 0
		.amdhsa_system_sgpr_private_segment_wavefront_offset 0
		.amdhsa_system_sgpr_workgroup_id_x 1
		.amdhsa_system_sgpr_workgroup_id_y 0
		.amdhsa_system_sgpr_workgroup_id_z 0
		.amdhsa_system_sgpr_workgroup_info 0
		.amdhsa_system_vgpr_workitem_id 0
		.amdhsa_next_free_vgpr 133
		.amdhsa_next_free_sgpr 96
		.amdhsa_reserve_vcc 1
		.amdhsa_reserve_flat_scratch 0
		.amdhsa_float_round_mode_32 0
		.amdhsa_float_round_mode_16_64 0
		.amdhsa_float_denorm_mode_32 3
		.amdhsa_float_denorm_mode_16_64 3
		.amdhsa_dx10_clamp 1
		.amdhsa_ieee_mode 1
		.amdhsa_fp16_overflow 0
		.amdhsa_exception_fp_ieee_invalid_op 0
		.amdhsa_exception_fp_denorm_src 0
		.amdhsa_exception_fp_ieee_div_zero 0
		.amdhsa_exception_fp_ieee_overflow 0
		.amdhsa_exception_fp_ieee_underflow 0
		.amdhsa_exception_fp_ieee_inexact 0
		.amdhsa_exception_int_div_zero 0
	.end_amdhsa_kernel
	.section	.text._ZN7rocprim6detail19block_reduce_kernelILb1ELb1ELj16ENS0_21wrapped_reduce_configINS_14default_configEdEEdPdS5_dN6thrust4plusIdEEEEvT4_mT5_T6_T7_,"axG",@progbits,_ZN7rocprim6detail19block_reduce_kernelILb1ELb1ELj16ENS0_21wrapped_reduce_configINS_14default_configEdEEdPdS5_dN6thrust4plusIdEEEEvT4_mT5_T6_T7_,comdat
.Lfunc_end7:
	.size	_ZN7rocprim6detail19block_reduce_kernelILb1ELb1ELj16ENS0_21wrapped_reduce_configINS_14default_configEdEEdPdS5_dN6thrust4plusIdEEEEvT4_mT5_T6_T7_, .Lfunc_end7-_ZN7rocprim6detail19block_reduce_kernelILb1ELb1ELj16ENS0_21wrapped_reduce_configINS_14default_configEdEEdPdS5_dN6thrust4plusIdEEEEvT4_mT5_T6_T7_
                                        ; -- End function
	.section	.AMDGPU.csdata,"",@progbits
; Kernel info:
; codeLenInByte = 7980
; NumSgprs: 100
; NumVgprs: 133
; ScratchSize: 0
; MemoryBound: 0
; FloatMode: 240
; IeeeMode: 1
; LDSByteSize: 32 bytes/workgroup (compile time only)
; SGPRBlocks: 12
; VGPRBlocks: 33
; NumSGPRsForWavesPerEU: 100
; NumVGPRsForWavesPerEU: 133
; Occupancy: 1
; WaveLimiterHint : 1
; COMPUTE_PGM_RSRC2:SCRATCH_EN: 0
; COMPUTE_PGM_RSRC2:USER_SGPR: 6
; COMPUTE_PGM_RSRC2:TRAP_HANDLER: 0
; COMPUTE_PGM_RSRC2:TGID_X_EN: 1
; COMPUTE_PGM_RSRC2:TGID_Y_EN: 0
; COMPUTE_PGM_RSRC2:TGID_Z_EN: 0
; COMPUTE_PGM_RSRC2:TIDIG_COMP_CNT: 0
	.section	.text._ZN7rocprim6detail19block_reduce_kernelILb1ELb0ELj16ENS0_21wrapped_reduce_configINS_14default_configEdEEdPdS5_dN6thrust4plusIdEEEEvT4_mT5_T6_T7_,"axG",@progbits,_ZN7rocprim6detail19block_reduce_kernelILb1ELb0ELj16ENS0_21wrapped_reduce_configINS_14default_configEdEEdPdS5_dN6thrust4plusIdEEEEvT4_mT5_T6_T7_,comdat
	.protected	_ZN7rocprim6detail19block_reduce_kernelILb1ELb0ELj16ENS0_21wrapped_reduce_configINS_14default_configEdEEdPdS5_dN6thrust4plusIdEEEEvT4_mT5_T6_T7_ ; -- Begin function _ZN7rocprim6detail19block_reduce_kernelILb1ELb0ELj16ENS0_21wrapped_reduce_configINS_14default_configEdEEdPdS5_dN6thrust4plusIdEEEEvT4_mT5_T6_T7_
	.globl	_ZN7rocprim6detail19block_reduce_kernelILb1ELb0ELj16ENS0_21wrapped_reduce_configINS_14default_configEdEEdPdS5_dN6thrust4plusIdEEEEvT4_mT5_T6_T7_
	.p2align	8
	.type	_ZN7rocprim6detail19block_reduce_kernelILb1ELb0ELj16ENS0_21wrapped_reduce_configINS_14default_configEdEEdPdS5_dN6thrust4plusIdEEEEvT4_mT5_T6_T7_,@function
_ZN7rocprim6detail19block_reduce_kernelILb1ELb0ELj16ENS0_21wrapped_reduce_configINS_14default_configEdEEdPdS5_dN6thrust4plusIdEEEEvT4_mT5_T6_T7_: ; @_ZN7rocprim6detail19block_reduce_kernelILb1ELb0ELj16ENS0_21wrapped_reduce_configINS_14default_configEdEEdPdS5_dN6thrust4plusIdEEEEvT4_mT5_T6_T7_
; %bb.0:
	s_load_dwordx8 s[8:15], s[4:5], 0x0
	s_mov_b32 s1, 0
	s_lshl_b32 s0, s6, 7
	s_mov_b32 s7, s1
	v_mbcnt_lo_u32_b32 v3, -1, 0
	s_waitcnt lgkmcnt(0)
	s_lshr_b64 s[2:3], s[10:11], 7
	s_cmp_lg_u64 s[2:3], s[6:7]
	s_cbranch_scc0 .LBB8_6
; %bb.1:
	s_lshl_b64 s[2:3], s[0:1], 3
	s_add_u32 s2, s8, s2
	s_addc_u32 s3, s9, s3
	v_lshlrev_b32_e32 v1, 3, v0
	global_load_dwordx2 v[1:2], v1, s[2:3]
	s_waitcnt vmcnt(0)
	s_nop 0
	v_mov_b32_dpp v4, v1 quad_perm:[1,0,3,2] row_mask:0xf bank_mask:0xf
	v_mov_b32_dpp v5, v2 quad_perm:[1,0,3,2] row_mask:0xf bank_mask:0xf
	v_add_f64 v[1:2], v[1:2], v[4:5]
	s_nop 1
	v_mov_b32_dpp v4, v1 quad_perm:[2,3,0,1] row_mask:0xf bank_mask:0xf
	v_mov_b32_dpp v5, v2 quad_perm:[2,3,0,1] row_mask:0xf bank_mask:0xf
	v_add_f64 v[1:2], v[1:2], v[4:5]
	s_nop 1
	v_mov_b32_dpp v4, v1 row_ror:4 row_mask:0xf bank_mask:0xf
	v_mov_b32_dpp v5, v2 row_ror:4 row_mask:0xf bank_mask:0xf
	v_add_f64 v[1:2], v[1:2], v[4:5]
	s_nop 1
	v_mov_b32_dpp v4, v1 row_ror:8 row_mask:0xf bank_mask:0xf
	v_mov_b32_dpp v5, v2 row_ror:8 row_mask:0xf bank_mask:0xf
	v_add_f64 v[1:2], v[1:2], v[4:5]
	s_nop 1
	v_mov_b32_dpp v4, v1 row_bcast:15 row_mask:0xf bank_mask:0xf
	v_mov_b32_dpp v5, v2 row_bcast:15 row_mask:0xf bank_mask:0xf
	v_add_f64 v[1:2], v[1:2], v[4:5]
	s_nop 1
	v_mov_b32_dpp v4, v1 row_bcast:31 row_mask:0xf bank_mask:0xf
	v_mov_b32_dpp v5, v2 row_bcast:31 row_mask:0xf bank_mask:0xf
	v_add_f64 v[1:2], v[1:2], v[4:5]
	v_mbcnt_hi_u32_b32 v5, -1, v3
	v_lshlrev_b32_e32 v4, 2, v5
	v_or_b32_e32 v6, 0xfc, v4
	v_cmp_eq_u32_e32 vcc, 0, v5
	ds_bpermute_b32 v1, v6, v1
	ds_bpermute_b32 v2, v6, v2
	s_and_saveexec_b64 s[2:3], vcc
	s_cbranch_execz .LBB8_3
; %bb.2:
	v_lshrrev_b32_e32 v6, 3, v0
	v_and_b32_e32 v6, 8, v6
	s_waitcnt lgkmcnt(0)
	ds_write_b64 v6, v[1:2]
.LBB8_3:
	s_or_b64 exec, exec, s[2:3]
	v_cmp_gt_u32_e32 vcc, 64, v0
	s_waitcnt lgkmcnt(0)
	s_barrier
	s_and_saveexec_b64 s[2:3], vcc
	s_cbranch_execz .LBB8_5
; %bb.4:
	v_and_b32_e32 v1, 1, v5
	v_lshlrev_b32_e32 v1, 3, v1
	ds_read_b64 v[1:2], v1
	v_or_b32_e32 v5, 4, v4
	s_waitcnt lgkmcnt(0)
	ds_bpermute_b32 v4, v5, v1
	ds_bpermute_b32 v5, v5, v2
	s_waitcnt lgkmcnt(0)
	v_add_f64 v[1:2], v[1:2], v[4:5]
.LBB8_5:
	s_or_b64 exec, exec, s[2:3]
	s_branch .LBB8_24
.LBB8_6:
                                        ; implicit-def: $vgpr1_vgpr2
	s_cbranch_execz .LBB8_24
; %bb.7:
	s_sub_i32 s4, s10, s0
	v_cmp_gt_u32_e32 vcc, s4, v0
                                        ; implicit-def: $vgpr1_vgpr2
	s_and_saveexec_b64 s[2:3], vcc
	s_cbranch_execz .LBB8_9
; %bb.8:
	s_lshl_b64 s[0:1], s[0:1], 3
	s_add_u32 s0, s8, s0
	s_addc_u32 s1, s9, s1
	v_lshlrev_b32_e32 v1, 3, v0
	global_load_dwordx2 v[1:2], v1, s[0:1]
.LBB8_9:
	s_or_b64 exec, exec, s[2:3]
	v_mbcnt_hi_u32_b32 v5, -1, v3
	v_and_b32_e32 v7, 63, v5
	v_cmp_ne_u32_e32 vcc, 63, v7
	v_addc_co_u32_e32 v3, vcc, 0, v5, vcc
	v_lshlrev_b32_e32 v4, 2, v3
	s_waitcnt vmcnt(0)
	ds_bpermute_b32 v3, v4, v1
	ds_bpermute_b32 v4, v4, v2
	s_min_u32 s2, s4, 0x80
	v_and_b32_e32 v6, 64, v0
	v_sub_u32_e64 v6, s2, v6 clamp
	v_add_u32_e32 v8, 1, v5
	v_cmp_lt_u32_e32 vcc, v8, v6
	s_and_saveexec_b64 s[0:1], vcc
	s_cbranch_execz .LBB8_11
; %bb.10:
	s_waitcnt lgkmcnt(0)
	v_add_f64 v[1:2], v[1:2], v[3:4]
.LBB8_11:
	s_or_b64 exec, exec, s[0:1]
	v_cmp_gt_u32_e32 vcc, 62, v7
	s_waitcnt lgkmcnt(1)
	v_cndmask_b32_e64 v3, 0, 1, vcc
	v_lshlrev_b32_e32 v3, 1, v3
	s_waitcnt lgkmcnt(0)
	v_add_lshl_u32 v4, v3, v5, 2
	ds_bpermute_b32 v3, v4, v1
	ds_bpermute_b32 v4, v4, v2
	v_add_u32_e32 v8, 2, v5
	v_cmp_lt_u32_e32 vcc, v8, v6
	s_and_saveexec_b64 s[0:1], vcc
	s_cbranch_execz .LBB8_13
; %bb.12:
	s_waitcnt lgkmcnt(0)
	v_add_f64 v[1:2], v[1:2], v[3:4]
.LBB8_13:
	s_or_b64 exec, exec, s[0:1]
	v_cmp_gt_u32_e32 vcc, 60, v7
	s_waitcnt lgkmcnt(1)
	v_cndmask_b32_e64 v3, 0, 1, vcc
	v_lshlrev_b32_e32 v3, 2, v3
	s_waitcnt lgkmcnt(0)
	v_add_lshl_u32 v4, v3, v5, 2
	ds_bpermute_b32 v3, v4, v1
	ds_bpermute_b32 v4, v4, v2
	;; [unrolled: 17-line block ×5, first 2 shown]
	v_add_u32_e32 v7, 32, v5
	v_cmp_lt_u32_e32 vcc, v7, v6
	s_waitcnt lgkmcnt(0)
	v_add_f64 v[3:4], v[1:2], v[3:4]
	v_cndmask_b32_e32 v2, v2, v4, vcc
	v_cndmask_b32_e32 v1, v1, v3, vcc
	v_cmp_eq_u32_e32 vcc, 0, v5
	s_and_saveexec_b64 s[0:1], vcc
	s_cbranch_execz .LBB8_21
; %bb.20:
	v_lshrrev_b32_e32 v3, 3, v0
	v_and_b32_e32 v3, 8, v3
	ds_write_b64 v3, v[1:2] offset:16
.LBB8_21:
	s_or_b64 exec, exec, s[0:1]
	v_cmp_gt_u32_e32 vcc, 2, v0
	s_waitcnt lgkmcnt(0)
	s_barrier
	s_and_saveexec_b64 s[0:1], vcc
	s_cbranch_execz .LBB8_23
; %bb.22:
	v_lshlrev_b32_e32 v1, 3, v5
	ds_read_b64 v[1:2], v1 offset:16
	v_lshl_or_b32 v4, v5, 2, 4
	s_add_i32 s2, s2, 63
	v_and_b32_e32 v5, 1, v5
	s_lshr_b32 s2, s2, 6
	s_waitcnt lgkmcnt(0)
	ds_bpermute_b32 v3, v4, v1
	ds_bpermute_b32 v4, v4, v2
	v_add_u32_e32 v5, 1, v5
	v_cmp_gt_u32_e32 vcc, s2, v5
	s_waitcnt lgkmcnt(0)
	v_add_f64 v[3:4], v[1:2], v[3:4]
	v_cndmask_b32_e32 v2, v2, v4, vcc
	v_cndmask_b32_e32 v1, v1, v3, vcc
.LBB8_23:
	s_or_b64 exec, exec, s[0:1]
.LBB8_24:
	v_cmp_eq_u32_e32 vcc, 0, v0
	s_and_saveexec_b64 s[0:1], vcc
	s_cbranch_execnz .LBB8_26
; %bb.25:
	s_endpgm
.LBB8_26:
	v_add_f64 v[0:1], v[1:2], s[14:15]
	s_lshl_b64 s[0:1], s[6:7], 3
	s_add_u32 s0, s12, s0
	s_addc_u32 s1, s13, s1
	s_cmp_eq_u64 s[10:11], 0
	v_mov_b32_e32 v3, s15
	s_cselect_b64 vcc, -1, 0
	v_mov_b32_e32 v2, 0
	v_cndmask_b32_e32 v1, v1, v3, vcc
	v_mov_b32_e32 v3, s14
	v_cndmask_b32_e32 v0, v0, v3, vcc
	global_store_dwordx2 v2, v[0:1], s[0:1]
	s_endpgm
	.section	.rodata,"a",@progbits
	.p2align	6, 0x0
	.amdhsa_kernel _ZN7rocprim6detail19block_reduce_kernelILb1ELb0ELj16ENS0_21wrapped_reduce_configINS_14default_configEdEEdPdS5_dN6thrust4plusIdEEEEvT4_mT5_T6_T7_
		.amdhsa_group_segment_fixed_size 32
		.amdhsa_private_segment_fixed_size 0
		.amdhsa_kernarg_size 36
		.amdhsa_user_sgpr_count 6
		.amdhsa_user_sgpr_private_segment_buffer 1
		.amdhsa_user_sgpr_dispatch_ptr 0
		.amdhsa_user_sgpr_queue_ptr 0
		.amdhsa_user_sgpr_kernarg_segment_ptr 1
		.amdhsa_user_sgpr_dispatch_id 0
		.amdhsa_user_sgpr_flat_scratch_init 0
		.amdhsa_user_sgpr_private_segment_size 0
		.amdhsa_uses_dynamic_stack 0
		.amdhsa_system_sgpr_private_segment_wavefront_offset 0
		.amdhsa_system_sgpr_workgroup_id_x 1
		.amdhsa_system_sgpr_workgroup_id_y 0
		.amdhsa_system_sgpr_workgroup_id_z 0
		.amdhsa_system_sgpr_workgroup_info 0
		.amdhsa_system_vgpr_workitem_id 0
		.amdhsa_next_free_vgpr 9
		.amdhsa_next_free_sgpr 16
		.amdhsa_reserve_vcc 1
		.amdhsa_reserve_flat_scratch 0
		.amdhsa_float_round_mode_32 0
		.amdhsa_float_round_mode_16_64 0
		.amdhsa_float_denorm_mode_32 3
		.amdhsa_float_denorm_mode_16_64 3
		.amdhsa_dx10_clamp 1
		.amdhsa_ieee_mode 1
		.amdhsa_fp16_overflow 0
		.amdhsa_exception_fp_ieee_invalid_op 0
		.amdhsa_exception_fp_denorm_src 0
		.amdhsa_exception_fp_ieee_div_zero 0
		.amdhsa_exception_fp_ieee_overflow 0
		.amdhsa_exception_fp_ieee_underflow 0
		.amdhsa_exception_fp_ieee_inexact 0
		.amdhsa_exception_int_div_zero 0
	.end_amdhsa_kernel
	.section	.text._ZN7rocprim6detail19block_reduce_kernelILb1ELb0ELj16ENS0_21wrapped_reduce_configINS_14default_configEdEEdPdS5_dN6thrust4plusIdEEEEvT4_mT5_T6_T7_,"axG",@progbits,_ZN7rocprim6detail19block_reduce_kernelILb1ELb0ELj16ENS0_21wrapped_reduce_configINS_14default_configEdEEdPdS5_dN6thrust4plusIdEEEEvT4_mT5_T6_T7_,comdat
.Lfunc_end8:
	.size	_ZN7rocprim6detail19block_reduce_kernelILb1ELb0ELj16ENS0_21wrapped_reduce_configINS_14default_configEdEEdPdS5_dN6thrust4plusIdEEEEvT4_mT5_T6_T7_, .Lfunc_end8-_ZN7rocprim6detail19block_reduce_kernelILb1ELb0ELj16ENS0_21wrapped_reduce_configINS_14default_configEdEEdPdS5_dN6thrust4plusIdEEEEvT4_mT5_T6_T7_
                                        ; -- End function
	.section	.AMDGPU.csdata,"",@progbits
; Kernel info:
; codeLenInByte = 1144
; NumSgprs: 20
; NumVgprs: 9
; ScratchSize: 0
; MemoryBound: 0
; FloatMode: 240
; IeeeMode: 1
; LDSByteSize: 32 bytes/workgroup (compile time only)
; SGPRBlocks: 2
; VGPRBlocks: 2
; NumSGPRsForWavesPerEU: 20
; NumVGPRsForWavesPerEU: 9
; Occupancy: 8
; WaveLimiterHint : 0
; COMPUTE_PGM_RSRC2:SCRATCH_EN: 0
; COMPUTE_PGM_RSRC2:USER_SGPR: 6
; COMPUTE_PGM_RSRC2:TRAP_HANDLER: 0
; COMPUTE_PGM_RSRC2:TGID_X_EN: 1
; COMPUTE_PGM_RSRC2:TGID_Y_EN: 0
; COMPUTE_PGM_RSRC2:TGID_Z_EN: 0
; COMPUTE_PGM_RSRC2:TIDIG_COMP_CNT: 0
	.section	.text._ZN7rocprim6detail19block_reduce_kernelILb1ELb0ELj8ENS0_21wrapped_reduce_configINS_14default_configEdEEdPdS5_dN6thrust4plusIdEEEEvT4_mT5_T6_T7_,"axG",@progbits,_ZN7rocprim6detail19block_reduce_kernelILb1ELb0ELj8ENS0_21wrapped_reduce_configINS_14default_configEdEEdPdS5_dN6thrust4plusIdEEEEvT4_mT5_T6_T7_,comdat
	.protected	_ZN7rocprim6detail19block_reduce_kernelILb1ELb0ELj8ENS0_21wrapped_reduce_configINS_14default_configEdEEdPdS5_dN6thrust4plusIdEEEEvT4_mT5_T6_T7_ ; -- Begin function _ZN7rocprim6detail19block_reduce_kernelILb1ELb0ELj8ENS0_21wrapped_reduce_configINS_14default_configEdEEdPdS5_dN6thrust4plusIdEEEEvT4_mT5_T6_T7_
	.globl	_ZN7rocprim6detail19block_reduce_kernelILb1ELb0ELj8ENS0_21wrapped_reduce_configINS_14default_configEdEEdPdS5_dN6thrust4plusIdEEEEvT4_mT5_T6_T7_
	.p2align	8
	.type	_ZN7rocprim6detail19block_reduce_kernelILb1ELb0ELj8ENS0_21wrapped_reduce_configINS_14default_configEdEEdPdS5_dN6thrust4plusIdEEEEvT4_mT5_T6_T7_,@function
_ZN7rocprim6detail19block_reduce_kernelILb1ELb0ELj8ENS0_21wrapped_reduce_configINS_14default_configEdEEdPdS5_dN6thrust4plusIdEEEEvT4_mT5_T6_T7_: ; @_ZN7rocprim6detail19block_reduce_kernelILb1ELb0ELj8ENS0_21wrapped_reduce_configINS_14default_configEdEEdPdS5_dN6thrust4plusIdEEEEvT4_mT5_T6_T7_
; %bb.0:
	s_load_dwordx8 s[8:15], s[4:5], 0x0
	s_mov_b32 s1, 0
	s_lshl_b32 s0, s6, 7
	s_mov_b32 s7, s1
	v_mbcnt_lo_u32_b32 v3, -1, 0
	s_waitcnt lgkmcnt(0)
	s_lshr_b64 s[2:3], s[10:11], 7
	s_cmp_lg_u64 s[2:3], s[6:7]
	s_cbranch_scc0 .LBB9_6
; %bb.1:
	s_lshl_b64 s[2:3], s[0:1], 3
	s_add_u32 s2, s8, s2
	s_addc_u32 s3, s9, s3
	v_lshlrev_b32_e32 v1, 3, v0
	global_load_dwordx2 v[1:2], v1, s[2:3]
	s_waitcnt vmcnt(0)
	s_nop 0
	v_mov_b32_dpp v4, v1 quad_perm:[1,0,3,2] row_mask:0xf bank_mask:0xf
	v_mov_b32_dpp v5, v2 quad_perm:[1,0,3,2] row_mask:0xf bank_mask:0xf
	v_add_f64 v[1:2], v[1:2], v[4:5]
	s_nop 1
	v_mov_b32_dpp v4, v1 quad_perm:[2,3,0,1] row_mask:0xf bank_mask:0xf
	v_mov_b32_dpp v5, v2 quad_perm:[2,3,0,1] row_mask:0xf bank_mask:0xf
	v_add_f64 v[1:2], v[1:2], v[4:5]
	s_nop 1
	v_mov_b32_dpp v4, v1 row_ror:4 row_mask:0xf bank_mask:0xf
	v_mov_b32_dpp v5, v2 row_ror:4 row_mask:0xf bank_mask:0xf
	v_add_f64 v[1:2], v[1:2], v[4:5]
	s_nop 1
	v_mov_b32_dpp v4, v1 row_ror:8 row_mask:0xf bank_mask:0xf
	v_mov_b32_dpp v5, v2 row_ror:8 row_mask:0xf bank_mask:0xf
	v_add_f64 v[1:2], v[1:2], v[4:5]
	s_nop 1
	v_mov_b32_dpp v4, v1 row_bcast:15 row_mask:0xf bank_mask:0xf
	v_mov_b32_dpp v5, v2 row_bcast:15 row_mask:0xf bank_mask:0xf
	v_add_f64 v[1:2], v[1:2], v[4:5]
	s_nop 1
	v_mov_b32_dpp v4, v1 row_bcast:31 row_mask:0xf bank_mask:0xf
	v_mov_b32_dpp v5, v2 row_bcast:31 row_mask:0xf bank_mask:0xf
	v_add_f64 v[1:2], v[1:2], v[4:5]
	v_mbcnt_hi_u32_b32 v5, -1, v3
	v_lshlrev_b32_e32 v4, 2, v5
	v_or_b32_e32 v6, 0xfc, v4
	v_cmp_eq_u32_e32 vcc, 0, v5
	ds_bpermute_b32 v1, v6, v1
	ds_bpermute_b32 v2, v6, v2
	s_and_saveexec_b64 s[2:3], vcc
	s_cbranch_execz .LBB9_3
; %bb.2:
	v_lshrrev_b32_e32 v6, 3, v0
	v_and_b32_e32 v6, 8, v6
	s_waitcnt lgkmcnt(0)
	ds_write_b64 v6, v[1:2]
.LBB9_3:
	s_or_b64 exec, exec, s[2:3]
	v_cmp_gt_u32_e32 vcc, 64, v0
	s_waitcnt lgkmcnt(0)
	s_barrier
	s_and_saveexec_b64 s[2:3], vcc
	s_cbranch_execz .LBB9_5
; %bb.4:
	v_and_b32_e32 v1, 1, v5
	v_lshlrev_b32_e32 v1, 3, v1
	ds_read_b64 v[1:2], v1
	v_or_b32_e32 v5, 4, v4
	s_waitcnt lgkmcnt(0)
	ds_bpermute_b32 v4, v5, v1
	ds_bpermute_b32 v5, v5, v2
	s_waitcnt lgkmcnt(0)
	v_add_f64 v[1:2], v[1:2], v[4:5]
.LBB9_5:
	s_or_b64 exec, exec, s[2:3]
	s_branch .LBB9_24
.LBB9_6:
                                        ; implicit-def: $vgpr1_vgpr2
	s_cbranch_execz .LBB9_24
; %bb.7:
	s_sub_i32 s4, s10, s0
	v_cmp_gt_u32_e32 vcc, s4, v0
                                        ; implicit-def: $vgpr1_vgpr2
	s_and_saveexec_b64 s[2:3], vcc
	s_cbranch_execz .LBB9_9
; %bb.8:
	s_lshl_b64 s[0:1], s[0:1], 3
	s_add_u32 s0, s8, s0
	s_addc_u32 s1, s9, s1
	v_lshlrev_b32_e32 v1, 3, v0
	global_load_dwordx2 v[1:2], v1, s[0:1]
.LBB9_9:
	s_or_b64 exec, exec, s[2:3]
	v_mbcnt_hi_u32_b32 v5, -1, v3
	v_and_b32_e32 v7, 63, v5
	v_cmp_ne_u32_e32 vcc, 63, v7
	v_addc_co_u32_e32 v3, vcc, 0, v5, vcc
	v_lshlrev_b32_e32 v4, 2, v3
	s_waitcnt vmcnt(0)
	ds_bpermute_b32 v3, v4, v1
	ds_bpermute_b32 v4, v4, v2
	s_min_u32 s2, s4, 0x80
	v_and_b32_e32 v6, 64, v0
	v_sub_u32_e64 v6, s2, v6 clamp
	v_add_u32_e32 v8, 1, v5
	v_cmp_lt_u32_e32 vcc, v8, v6
	s_and_saveexec_b64 s[0:1], vcc
	s_cbranch_execz .LBB9_11
; %bb.10:
	s_waitcnt lgkmcnt(0)
	v_add_f64 v[1:2], v[1:2], v[3:4]
.LBB9_11:
	s_or_b64 exec, exec, s[0:1]
	v_cmp_gt_u32_e32 vcc, 62, v7
	s_waitcnt lgkmcnt(1)
	v_cndmask_b32_e64 v3, 0, 1, vcc
	v_lshlrev_b32_e32 v3, 1, v3
	s_waitcnt lgkmcnt(0)
	v_add_lshl_u32 v4, v3, v5, 2
	ds_bpermute_b32 v3, v4, v1
	ds_bpermute_b32 v4, v4, v2
	v_add_u32_e32 v8, 2, v5
	v_cmp_lt_u32_e32 vcc, v8, v6
	s_and_saveexec_b64 s[0:1], vcc
	s_cbranch_execz .LBB9_13
; %bb.12:
	s_waitcnt lgkmcnt(0)
	v_add_f64 v[1:2], v[1:2], v[3:4]
.LBB9_13:
	s_or_b64 exec, exec, s[0:1]
	v_cmp_gt_u32_e32 vcc, 60, v7
	s_waitcnt lgkmcnt(1)
	v_cndmask_b32_e64 v3, 0, 1, vcc
	v_lshlrev_b32_e32 v3, 2, v3
	s_waitcnt lgkmcnt(0)
	v_add_lshl_u32 v4, v3, v5, 2
	ds_bpermute_b32 v3, v4, v1
	ds_bpermute_b32 v4, v4, v2
	;; [unrolled: 17-line block ×5, first 2 shown]
	v_add_u32_e32 v7, 32, v5
	v_cmp_lt_u32_e32 vcc, v7, v6
	s_waitcnt lgkmcnt(0)
	v_add_f64 v[3:4], v[1:2], v[3:4]
	v_cndmask_b32_e32 v2, v2, v4, vcc
	v_cndmask_b32_e32 v1, v1, v3, vcc
	v_cmp_eq_u32_e32 vcc, 0, v5
	s_and_saveexec_b64 s[0:1], vcc
	s_cbranch_execz .LBB9_21
; %bb.20:
	v_lshrrev_b32_e32 v3, 3, v0
	v_and_b32_e32 v3, 8, v3
	ds_write_b64 v3, v[1:2] offset:16
.LBB9_21:
	s_or_b64 exec, exec, s[0:1]
	v_cmp_gt_u32_e32 vcc, 2, v0
	s_waitcnt lgkmcnt(0)
	s_barrier
	s_and_saveexec_b64 s[0:1], vcc
	s_cbranch_execz .LBB9_23
; %bb.22:
	v_lshlrev_b32_e32 v1, 3, v5
	ds_read_b64 v[1:2], v1 offset:16
	v_lshl_or_b32 v4, v5, 2, 4
	s_add_i32 s2, s2, 63
	v_and_b32_e32 v5, 1, v5
	s_lshr_b32 s2, s2, 6
	s_waitcnt lgkmcnt(0)
	ds_bpermute_b32 v3, v4, v1
	ds_bpermute_b32 v4, v4, v2
	v_add_u32_e32 v5, 1, v5
	v_cmp_gt_u32_e32 vcc, s2, v5
	s_waitcnt lgkmcnt(0)
	v_add_f64 v[3:4], v[1:2], v[3:4]
	v_cndmask_b32_e32 v2, v2, v4, vcc
	v_cndmask_b32_e32 v1, v1, v3, vcc
.LBB9_23:
	s_or_b64 exec, exec, s[0:1]
.LBB9_24:
	v_cmp_eq_u32_e32 vcc, 0, v0
	s_and_saveexec_b64 s[0:1], vcc
	s_cbranch_execnz .LBB9_26
; %bb.25:
	s_endpgm
.LBB9_26:
	v_add_f64 v[0:1], v[1:2], s[14:15]
	s_lshl_b64 s[0:1], s[6:7], 3
	s_add_u32 s0, s12, s0
	s_addc_u32 s1, s13, s1
	s_cmp_eq_u64 s[10:11], 0
	v_mov_b32_e32 v3, s15
	s_cselect_b64 vcc, -1, 0
	v_mov_b32_e32 v2, 0
	v_cndmask_b32_e32 v1, v1, v3, vcc
	v_mov_b32_e32 v3, s14
	v_cndmask_b32_e32 v0, v0, v3, vcc
	global_store_dwordx2 v2, v[0:1], s[0:1]
	s_endpgm
	.section	.rodata,"a",@progbits
	.p2align	6, 0x0
	.amdhsa_kernel _ZN7rocprim6detail19block_reduce_kernelILb1ELb0ELj8ENS0_21wrapped_reduce_configINS_14default_configEdEEdPdS5_dN6thrust4plusIdEEEEvT4_mT5_T6_T7_
		.amdhsa_group_segment_fixed_size 32
		.amdhsa_private_segment_fixed_size 0
		.amdhsa_kernarg_size 36
		.amdhsa_user_sgpr_count 6
		.amdhsa_user_sgpr_private_segment_buffer 1
		.amdhsa_user_sgpr_dispatch_ptr 0
		.amdhsa_user_sgpr_queue_ptr 0
		.amdhsa_user_sgpr_kernarg_segment_ptr 1
		.amdhsa_user_sgpr_dispatch_id 0
		.amdhsa_user_sgpr_flat_scratch_init 0
		.amdhsa_user_sgpr_private_segment_size 0
		.amdhsa_uses_dynamic_stack 0
		.amdhsa_system_sgpr_private_segment_wavefront_offset 0
		.amdhsa_system_sgpr_workgroup_id_x 1
		.amdhsa_system_sgpr_workgroup_id_y 0
		.amdhsa_system_sgpr_workgroup_id_z 0
		.amdhsa_system_sgpr_workgroup_info 0
		.amdhsa_system_vgpr_workitem_id 0
		.amdhsa_next_free_vgpr 9
		.amdhsa_next_free_sgpr 16
		.amdhsa_reserve_vcc 1
		.amdhsa_reserve_flat_scratch 0
		.amdhsa_float_round_mode_32 0
		.amdhsa_float_round_mode_16_64 0
		.amdhsa_float_denorm_mode_32 3
		.amdhsa_float_denorm_mode_16_64 3
		.amdhsa_dx10_clamp 1
		.amdhsa_ieee_mode 1
		.amdhsa_fp16_overflow 0
		.amdhsa_exception_fp_ieee_invalid_op 0
		.amdhsa_exception_fp_denorm_src 0
		.amdhsa_exception_fp_ieee_div_zero 0
		.amdhsa_exception_fp_ieee_overflow 0
		.amdhsa_exception_fp_ieee_underflow 0
		.amdhsa_exception_fp_ieee_inexact 0
		.amdhsa_exception_int_div_zero 0
	.end_amdhsa_kernel
	.section	.text._ZN7rocprim6detail19block_reduce_kernelILb1ELb0ELj8ENS0_21wrapped_reduce_configINS_14default_configEdEEdPdS5_dN6thrust4plusIdEEEEvT4_mT5_T6_T7_,"axG",@progbits,_ZN7rocprim6detail19block_reduce_kernelILb1ELb0ELj8ENS0_21wrapped_reduce_configINS_14default_configEdEEdPdS5_dN6thrust4plusIdEEEEvT4_mT5_T6_T7_,comdat
.Lfunc_end9:
	.size	_ZN7rocprim6detail19block_reduce_kernelILb1ELb0ELj8ENS0_21wrapped_reduce_configINS_14default_configEdEEdPdS5_dN6thrust4plusIdEEEEvT4_mT5_T6_T7_, .Lfunc_end9-_ZN7rocprim6detail19block_reduce_kernelILb1ELb0ELj8ENS0_21wrapped_reduce_configINS_14default_configEdEEdPdS5_dN6thrust4plusIdEEEEvT4_mT5_T6_T7_
                                        ; -- End function
	.section	.AMDGPU.csdata,"",@progbits
; Kernel info:
; codeLenInByte = 1144
; NumSgprs: 20
; NumVgprs: 9
; ScratchSize: 0
; MemoryBound: 0
; FloatMode: 240
; IeeeMode: 1
; LDSByteSize: 32 bytes/workgroup (compile time only)
; SGPRBlocks: 2
; VGPRBlocks: 2
; NumSGPRsForWavesPerEU: 20
; NumVGPRsForWavesPerEU: 9
; Occupancy: 8
; WaveLimiterHint : 0
; COMPUTE_PGM_RSRC2:SCRATCH_EN: 0
; COMPUTE_PGM_RSRC2:USER_SGPR: 6
; COMPUTE_PGM_RSRC2:TRAP_HANDLER: 0
; COMPUTE_PGM_RSRC2:TGID_X_EN: 1
; COMPUTE_PGM_RSRC2:TGID_Y_EN: 0
; COMPUTE_PGM_RSRC2:TGID_Z_EN: 0
; COMPUTE_PGM_RSRC2:TIDIG_COMP_CNT: 0
	.section	.text._ZN7rocprim6detail19block_reduce_kernelILb1ELb0ELj4ENS0_21wrapped_reduce_configINS_14default_configEdEEdPdS5_dN6thrust4plusIdEEEEvT4_mT5_T6_T7_,"axG",@progbits,_ZN7rocprim6detail19block_reduce_kernelILb1ELb0ELj4ENS0_21wrapped_reduce_configINS_14default_configEdEEdPdS5_dN6thrust4plusIdEEEEvT4_mT5_T6_T7_,comdat
	.protected	_ZN7rocprim6detail19block_reduce_kernelILb1ELb0ELj4ENS0_21wrapped_reduce_configINS_14default_configEdEEdPdS5_dN6thrust4plusIdEEEEvT4_mT5_T6_T7_ ; -- Begin function _ZN7rocprim6detail19block_reduce_kernelILb1ELb0ELj4ENS0_21wrapped_reduce_configINS_14default_configEdEEdPdS5_dN6thrust4plusIdEEEEvT4_mT5_T6_T7_
	.globl	_ZN7rocprim6detail19block_reduce_kernelILb1ELb0ELj4ENS0_21wrapped_reduce_configINS_14default_configEdEEdPdS5_dN6thrust4plusIdEEEEvT4_mT5_T6_T7_
	.p2align	8
	.type	_ZN7rocprim6detail19block_reduce_kernelILb1ELb0ELj4ENS0_21wrapped_reduce_configINS_14default_configEdEEdPdS5_dN6thrust4plusIdEEEEvT4_mT5_T6_T7_,@function
_ZN7rocprim6detail19block_reduce_kernelILb1ELb0ELj4ENS0_21wrapped_reduce_configINS_14default_configEdEEdPdS5_dN6thrust4plusIdEEEEvT4_mT5_T6_T7_: ; @_ZN7rocprim6detail19block_reduce_kernelILb1ELb0ELj4ENS0_21wrapped_reduce_configINS_14default_configEdEEdPdS5_dN6thrust4plusIdEEEEvT4_mT5_T6_T7_
; %bb.0:
	s_load_dwordx8 s[8:15], s[4:5], 0x0
	s_mov_b32 s1, 0
	s_lshl_b32 s0, s6, 7
	s_mov_b32 s7, s1
	v_mbcnt_lo_u32_b32 v3, -1, 0
	s_waitcnt lgkmcnt(0)
	s_lshr_b64 s[2:3], s[10:11], 7
	s_cmp_lg_u64 s[2:3], s[6:7]
	s_cbranch_scc0 .LBB10_6
; %bb.1:
	s_lshl_b64 s[2:3], s[0:1], 3
	s_add_u32 s2, s8, s2
	s_addc_u32 s3, s9, s3
	v_lshlrev_b32_e32 v1, 3, v0
	global_load_dwordx2 v[1:2], v1, s[2:3]
	s_waitcnt vmcnt(0)
	s_nop 0
	v_mov_b32_dpp v4, v1 quad_perm:[1,0,3,2] row_mask:0xf bank_mask:0xf
	v_mov_b32_dpp v5, v2 quad_perm:[1,0,3,2] row_mask:0xf bank_mask:0xf
	v_add_f64 v[1:2], v[1:2], v[4:5]
	s_nop 1
	v_mov_b32_dpp v4, v1 quad_perm:[2,3,0,1] row_mask:0xf bank_mask:0xf
	v_mov_b32_dpp v5, v2 quad_perm:[2,3,0,1] row_mask:0xf bank_mask:0xf
	v_add_f64 v[1:2], v[1:2], v[4:5]
	s_nop 1
	v_mov_b32_dpp v4, v1 row_ror:4 row_mask:0xf bank_mask:0xf
	v_mov_b32_dpp v5, v2 row_ror:4 row_mask:0xf bank_mask:0xf
	v_add_f64 v[1:2], v[1:2], v[4:5]
	s_nop 1
	v_mov_b32_dpp v4, v1 row_ror:8 row_mask:0xf bank_mask:0xf
	v_mov_b32_dpp v5, v2 row_ror:8 row_mask:0xf bank_mask:0xf
	v_add_f64 v[1:2], v[1:2], v[4:5]
	s_nop 1
	v_mov_b32_dpp v4, v1 row_bcast:15 row_mask:0xf bank_mask:0xf
	v_mov_b32_dpp v5, v2 row_bcast:15 row_mask:0xf bank_mask:0xf
	v_add_f64 v[1:2], v[1:2], v[4:5]
	s_nop 1
	v_mov_b32_dpp v4, v1 row_bcast:31 row_mask:0xf bank_mask:0xf
	v_mov_b32_dpp v5, v2 row_bcast:31 row_mask:0xf bank_mask:0xf
	v_add_f64 v[1:2], v[1:2], v[4:5]
	v_mbcnt_hi_u32_b32 v5, -1, v3
	v_lshlrev_b32_e32 v4, 2, v5
	v_or_b32_e32 v6, 0xfc, v4
	v_cmp_eq_u32_e32 vcc, 0, v5
	ds_bpermute_b32 v1, v6, v1
	ds_bpermute_b32 v2, v6, v2
	s_and_saveexec_b64 s[2:3], vcc
	s_cbranch_execz .LBB10_3
; %bb.2:
	v_lshrrev_b32_e32 v6, 3, v0
	v_and_b32_e32 v6, 8, v6
	s_waitcnt lgkmcnt(0)
	ds_write_b64 v6, v[1:2]
.LBB10_3:
	s_or_b64 exec, exec, s[2:3]
	v_cmp_gt_u32_e32 vcc, 64, v0
	s_waitcnt lgkmcnt(0)
	s_barrier
	s_and_saveexec_b64 s[2:3], vcc
	s_cbranch_execz .LBB10_5
; %bb.4:
	v_and_b32_e32 v1, 1, v5
	v_lshlrev_b32_e32 v1, 3, v1
	ds_read_b64 v[1:2], v1
	v_or_b32_e32 v5, 4, v4
	s_waitcnt lgkmcnt(0)
	ds_bpermute_b32 v4, v5, v1
	ds_bpermute_b32 v5, v5, v2
	s_waitcnt lgkmcnt(0)
	v_add_f64 v[1:2], v[1:2], v[4:5]
.LBB10_5:
	s_or_b64 exec, exec, s[2:3]
	s_branch .LBB10_24
.LBB10_6:
                                        ; implicit-def: $vgpr1_vgpr2
	s_cbranch_execz .LBB10_24
; %bb.7:
	s_sub_i32 s4, s10, s0
	v_cmp_gt_u32_e32 vcc, s4, v0
                                        ; implicit-def: $vgpr1_vgpr2
	s_and_saveexec_b64 s[2:3], vcc
	s_cbranch_execz .LBB10_9
; %bb.8:
	s_lshl_b64 s[0:1], s[0:1], 3
	s_add_u32 s0, s8, s0
	s_addc_u32 s1, s9, s1
	v_lshlrev_b32_e32 v1, 3, v0
	global_load_dwordx2 v[1:2], v1, s[0:1]
.LBB10_9:
	s_or_b64 exec, exec, s[2:3]
	v_mbcnt_hi_u32_b32 v5, -1, v3
	v_and_b32_e32 v7, 63, v5
	v_cmp_ne_u32_e32 vcc, 63, v7
	v_addc_co_u32_e32 v3, vcc, 0, v5, vcc
	v_lshlrev_b32_e32 v4, 2, v3
	s_waitcnt vmcnt(0)
	ds_bpermute_b32 v3, v4, v1
	ds_bpermute_b32 v4, v4, v2
	s_min_u32 s2, s4, 0x80
	v_and_b32_e32 v6, 64, v0
	v_sub_u32_e64 v6, s2, v6 clamp
	v_add_u32_e32 v8, 1, v5
	v_cmp_lt_u32_e32 vcc, v8, v6
	s_and_saveexec_b64 s[0:1], vcc
	s_cbranch_execz .LBB10_11
; %bb.10:
	s_waitcnt lgkmcnt(0)
	v_add_f64 v[1:2], v[1:2], v[3:4]
.LBB10_11:
	s_or_b64 exec, exec, s[0:1]
	v_cmp_gt_u32_e32 vcc, 62, v7
	s_waitcnt lgkmcnt(1)
	v_cndmask_b32_e64 v3, 0, 1, vcc
	v_lshlrev_b32_e32 v3, 1, v3
	s_waitcnt lgkmcnt(0)
	v_add_lshl_u32 v4, v3, v5, 2
	ds_bpermute_b32 v3, v4, v1
	ds_bpermute_b32 v4, v4, v2
	v_add_u32_e32 v8, 2, v5
	v_cmp_lt_u32_e32 vcc, v8, v6
	s_and_saveexec_b64 s[0:1], vcc
	s_cbranch_execz .LBB10_13
; %bb.12:
	s_waitcnt lgkmcnt(0)
	v_add_f64 v[1:2], v[1:2], v[3:4]
.LBB10_13:
	s_or_b64 exec, exec, s[0:1]
	v_cmp_gt_u32_e32 vcc, 60, v7
	s_waitcnt lgkmcnt(1)
	v_cndmask_b32_e64 v3, 0, 1, vcc
	v_lshlrev_b32_e32 v3, 2, v3
	s_waitcnt lgkmcnt(0)
	v_add_lshl_u32 v4, v3, v5, 2
	ds_bpermute_b32 v3, v4, v1
	ds_bpermute_b32 v4, v4, v2
	;; [unrolled: 17-line block ×5, first 2 shown]
	v_add_u32_e32 v7, 32, v5
	v_cmp_lt_u32_e32 vcc, v7, v6
	s_waitcnt lgkmcnt(0)
	v_add_f64 v[3:4], v[1:2], v[3:4]
	v_cndmask_b32_e32 v2, v2, v4, vcc
	v_cndmask_b32_e32 v1, v1, v3, vcc
	v_cmp_eq_u32_e32 vcc, 0, v5
	s_and_saveexec_b64 s[0:1], vcc
	s_cbranch_execz .LBB10_21
; %bb.20:
	v_lshrrev_b32_e32 v3, 3, v0
	v_and_b32_e32 v3, 8, v3
	ds_write_b64 v3, v[1:2] offset:16
.LBB10_21:
	s_or_b64 exec, exec, s[0:1]
	v_cmp_gt_u32_e32 vcc, 2, v0
	s_waitcnt lgkmcnt(0)
	s_barrier
	s_and_saveexec_b64 s[0:1], vcc
	s_cbranch_execz .LBB10_23
; %bb.22:
	v_lshlrev_b32_e32 v1, 3, v5
	ds_read_b64 v[1:2], v1 offset:16
	v_lshl_or_b32 v4, v5, 2, 4
	s_add_i32 s2, s2, 63
	v_and_b32_e32 v5, 1, v5
	s_lshr_b32 s2, s2, 6
	s_waitcnt lgkmcnt(0)
	ds_bpermute_b32 v3, v4, v1
	ds_bpermute_b32 v4, v4, v2
	v_add_u32_e32 v5, 1, v5
	v_cmp_gt_u32_e32 vcc, s2, v5
	s_waitcnt lgkmcnt(0)
	v_add_f64 v[3:4], v[1:2], v[3:4]
	v_cndmask_b32_e32 v2, v2, v4, vcc
	v_cndmask_b32_e32 v1, v1, v3, vcc
.LBB10_23:
	s_or_b64 exec, exec, s[0:1]
.LBB10_24:
	v_cmp_eq_u32_e32 vcc, 0, v0
	s_and_saveexec_b64 s[0:1], vcc
	s_cbranch_execnz .LBB10_26
; %bb.25:
	s_endpgm
.LBB10_26:
	v_add_f64 v[0:1], v[1:2], s[14:15]
	s_lshl_b64 s[0:1], s[6:7], 3
	s_add_u32 s0, s12, s0
	s_addc_u32 s1, s13, s1
	s_cmp_eq_u64 s[10:11], 0
	v_mov_b32_e32 v3, s15
	s_cselect_b64 vcc, -1, 0
	v_mov_b32_e32 v2, 0
	v_cndmask_b32_e32 v1, v1, v3, vcc
	v_mov_b32_e32 v3, s14
	v_cndmask_b32_e32 v0, v0, v3, vcc
	global_store_dwordx2 v2, v[0:1], s[0:1]
	s_endpgm
	.section	.rodata,"a",@progbits
	.p2align	6, 0x0
	.amdhsa_kernel _ZN7rocprim6detail19block_reduce_kernelILb1ELb0ELj4ENS0_21wrapped_reduce_configINS_14default_configEdEEdPdS5_dN6thrust4plusIdEEEEvT4_mT5_T6_T7_
		.amdhsa_group_segment_fixed_size 32
		.amdhsa_private_segment_fixed_size 0
		.amdhsa_kernarg_size 36
		.amdhsa_user_sgpr_count 6
		.amdhsa_user_sgpr_private_segment_buffer 1
		.amdhsa_user_sgpr_dispatch_ptr 0
		.amdhsa_user_sgpr_queue_ptr 0
		.amdhsa_user_sgpr_kernarg_segment_ptr 1
		.amdhsa_user_sgpr_dispatch_id 0
		.amdhsa_user_sgpr_flat_scratch_init 0
		.amdhsa_user_sgpr_private_segment_size 0
		.amdhsa_uses_dynamic_stack 0
		.amdhsa_system_sgpr_private_segment_wavefront_offset 0
		.amdhsa_system_sgpr_workgroup_id_x 1
		.amdhsa_system_sgpr_workgroup_id_y 0
		.amdhsa_system_sgpr_workgroup_id_z 0
		.amdhsa_system_sgpr_workgroup_info 0
		.amdhsa_system_vgpr_workitem_id 0
		.amdhsa_next_free_vgpr 9
		.amdhsa_next_free_sgpr 16
		.amdhsa_reserve_vcc 1
		.amdhsa_reserve_flat_scratch 0
		.amdhsa_float_round_mode_32 0
		.amdhsa_float_round_mode_16_64 0
		.amdhsa_float_denorm_mode_32 3
		.amdhsa_float_denorm_mode_16_64 3
		.amdhsa_dx10_clamp 1
		.amdhsa_ieee_mode 1
		.amdhsa_fp16_overflow 0
		.amdhsa_exception_fp_ieee_invalid_op 0
		.amdhsa_exception_fp_denorm_src 0
		.amdhsa_exception_fp_ieee_div_zero 0
		.amdhsa_exception_fp_ieee_overflow 0
		.amdhsa_exception_fp_ieee_underflow 0
		.amdhsa_exception_fp_ieee_inexact 0
		.amdhsa_exception_int_div_zero 0
	.end_amdhsa_kernel
	.section	.text._ZN7rocprim6detail19block_reduce_kernelILb1ELb0ELj4ENS0_21wrapped_reduce_configINS_14default_configEdEEdPdS5_dN6thrust4plusIdEEEEvT4_mT5_T6_T7_,"axG",@progbits,_ZN7rocprim6detail19block_reduce_kernelILb1ELb0ELj4ENS0_21wrapped_reduce_configINS_14default_configEdEEdPdS5_dN6thrust4plusIdEEEEvT4_mT5_T6_T7_,comdat
.Lfunc_end10:
	.size	_ZN7rocprim6detail19block_reduce_kernelILb1ELb0ELj4ENS0_21wrapped_reduce_configINS_14default_configEdEEdPdS5_dN6thrust4plusIdEEEEvT4_mT5_T6_T7_, .Lfunc_end10-_ZN7rocprim6detail19block_reduce_kernelILb1ELb0ELj4ENS0_21wrapped_reduce_configINS_14default_configEdEEdPdS5_dN6thrust4plusIdEEEEvT4_mT5_T6_T7_
                                        ; -- End function
	.section	.AMDGPU.csdata,"",@progbits
; Kernel info:
; codeLenInByte = 1144
; NumSgprs: 20
; NumVgprs: 9
; ScratchSize: 0
; MemoryBound: 0
; FloatMode: 240
; IeeeMode: 1
; LDSByteSize: 32 bytes/workgroup (compile time only)
; SGPRBlocks: 2
; VGPRBlocks: 2
; NumSGPRsForWavesPerEU: 20
; NumVGPRsForWavesPerEU: 9
; Occupancy: 8
; WaveLimiterHint : 0
; COMPUTE_PGM_RSRC2:SCRATCH_EN: 0
; COMPUTE_PGM_RSRC2:USER_SGPR: 6
; COMPUTE_PGM_RSRC2:TRAP_HANDLER: 0
; COMPUTE_PGM_RSRC2:TGID_X_EN: 1
; COMPUTE_PGM_RSRC2:TGID_Y_EN: 0
; COMPUTE_PGM_RSRC2:TGID_Z_EN: 0
; COMPUTE_PGM_RSRC2:TIDIG_COMP_CNT: 0
	.section	.text._ZN7rocprim6detail19block_reduce_kernelILb1ELb0ELj2ENS0_21wrapped_reduce_configINS_14default_configEdEEdPdS5_dN6thrust4plusIdEEEEvT4_mT5_T6_T7_,"axG",@progbits,_ZN7rocprim6detail19block_reduce_kernelILb1ELb0ELj2ENS0_21wrapped_reduce_configINS_14default_configEdEEdPdS5_dN6thrust4plusIdEEEEvT4_mT5_T6_T7_,comdat
	.protected	_ZN7rocprim6detail19block_reduce_kernelILb1ELb0ELj2ENS0_21wrapped_reduce_configINS_14default_configEdEEdPdS5_dN6thrust4plusIdEEEEvT4_mT5_T6_T7_ ; -- Begin function _ZN7rocprim6detail19block_reduce_kernelILb1ELb0ELj2ENS0_21wrapped_reduce_configINS_14default_configEdEEdPdS5_dN6thrust4plusIdEEEEvT4_mT5_T6_T7_
	.globl	_ZN7rocprim6detail19block_reduce_kernelILb1ELb0ELj2ENS0_21wrapped_reduce_configINS_14default_configEdEEdPdS5_dN6thrust4plusIdEEEEvT4_mT5_T6_T7_
	.p2align	8
	.type	_ZN7rocprim6detail19block_reduce_kernelILb1ELb0ELj2ENS0_21wrapped_reduce_configINS_14default_configEdEEdPdS5_dN6thrust4plusIdEEEEvT4_mT5_T6_T7_,@function
_ZN7rocprim6detail19block_reduce_kernelILb1ELb0ELj2ENS0_21wrapped_reduce_configINS_14default_configEdEEdPdS5_dN6thrust4plusIdEEEEvT4_mT5_T6_T7_: ; @_ZN7rocprim6detail19block_reduce_kernelILb1ELb0ELj2ENS0_21wrapped_reduce_configINS_14default_configEdEEdPdS5_dN6thrust4plusIdEEEEvT4_mT5_T6_T7_
; %bb.0:
	s_load_dwordx8 s[8:15], s[4:5], 0x0
	s_lshl_b32 s0, s6, 8
	s_mov_b32 s1, 0
	s_lshl_b64 s[4:5], s[0:1], 3
	s_mov_b32 s7, s1
	s_waitcnt lgkmcnt(0)
	s_lshr_b64 s[2:3], s[10:11], 8
	s_add_u32 s1, s8, s4
	s_addc_u32 s4, s9, s5
	v_lshlrev_b32_e32 v1, 3, v0
	v_mov_b32_e32 v2, s4
	v_add_co_u32_e32 v5, vcc, s1, v1
	s_cmp_lg_u64 s[2:3], s[6:7]
	v_addc_co_u32_e32 v6, vcc, 0, v2, vcc
	v_mbcnt_lo_u32_b32 v7, -1, 0
	s_cbranch_scc0 .LBB11_6
; %bb.1:
	global_load_dwordx2 v[1:2], v[5:6], off
	global_load_dwordx2 v[3:4], v[5:6], off offset:1024
	s_waitcnt vmcnt(0)
	v_add_f64 v[1:2], v[1:2], v[3:4]
	s_nop 1
	v_mov_b32_dpp v3, v1 quad_perm:[1,0,3,2] row_mask:0xf bank_mask:0xf
	v_mov_b32_dpp v4, v2 quad_perm:[1,0,3,2] row_mask:0xf bank_mask:0xf
	v_add_f64 v[1:2], v[1:2], v[3:4]
	s_nop 1
	v_mov_b32_dpp v3, v1 quad_perm:[2,3,0,1] row_mask:0xf bank_mask:0xf
	v_mov_b32_dpp v4, v2 quad_perm:[2,3,0,1] row_mask:0xf bank_mask:0xf
	v_add_f64 v[1:2], v[1:2], v[3:4]
	s_nop 1
	v_mov_b32_dpp v3, v1 row_ror:4 row_mask:0xf bank_mask:0xf
	v_mov_b32_dpp v4, v2 row_ror:4 row_mask:0xf bank_mask:0xf
	v_add_f64 v[1:2], v[1:2], v[3:4]
	s_nop 1
	v_mov_b32_dpp v3, v1 row_ror:8 row_mask:0xf bank_mask:0xf
	v_mov_b32_dpp v4, v2 row_ror:8 row_mask:0xf bank_mask:0xf
	v_add_f64 v[1:2], v[1:2], v[3:4]
	s_nop 1
	v_mov_b32_dpp v3, v1 row_bcast:15 row_mask:0xf bank_mask:0xf
	v_mov_b32_dpp v4, v2 row_bcast:15 row_mask:0xf bank_mask:0xf
	v_add_f64 v[1:2], v[1:2], v[3:4]
	s_nop 1
	v_mov_b32_dpp v3, v1 row_bcast:31 row_mask:0xf bank_mask:0xf
	v_mov_b32_dpp v4, v2 row_bcast:31 row_mask:0xf bank_mask:0xf
	v_add_f64 v[1:2], v[1:2], v[3:4]
	v_mbcnt_hi_u32_b32 v4, -1, v7
	v_lshlrev_b32_e32 v3, 2, v4
	v_or_b32_e32 v8, 0xfc, v3
	v_cmp_eq_u32_e32 vcc, 0, v4
	ds_bpermute_b32 v1, v8, v1
	ds_bpermute_b32 v2, v8, v2
	s_and_saveexec_b64 s[2:3], vcc
	s_cbranch_execz .LBB11_3
; %bb.2:
	v_lshrrev_b32_e32 v8, 3, v0
	v_and_b32_e32 v8, 8, v8
	s_waitcnt lgkmcnt(0)
	ds_write_b64 v8, v[1:2]
.LBB11_3:
	s_or_b64 exec, exec, s[2:3]
	v_cmp_gt_u32_e32 vcc, 64, v0
	s_waitcnt lgkmcnt(0)
	s_barrier
	s_and_saveexec_b64 s[2:3], vcc
	s_cbranch_execz .LBB11_5
; %bb.4:
	v_and_b32_e32 v1, 1, v4
	v_lshlrev_b32_e32 v1, 3, v1
	ds_read_b64 v[1:2], v1
	v_or_b32_e32 v4, 4, v3
	s_waitcnt lgkmcnt(0)
	ds_bpermute_b32 v3, v4, v1
	ds_bpermute_b32 v4, v4, v2
	s_waitcnt lgkmcnt(0)
	v_add_f64 v[1:2], v[1:2], v[3:4]
.LBB11_5:
	s_or_b64 exec, exec, s[2:3]
	s_branch .LBB11_26
.LBB11_6:
                                        ; implicit-def: $vgpr1_vgpr2
	s_cbranch_execz .LBB11_26
; %bb.7:
	s_sub_i32 s2, s10, s0
	v_cmp_gt_u32_e32 vcc, s2, v0
                                        ; implicit-def: $vgpr1_vgpr2_vgpr3_vgpr4
	s_and_saveexec_b64 s[0:1], vcc
	s_cbranch_execz .LBB11_9
; %bb.8:
	global_load_dwordx2 v[1:2], v[5:6], off
.LBB11_9:
	s_or_b64 exec, exec, s[0:1]
	v_or_b32_e32 v8, 0x80, v0
	v_cmp_gt_u32_e32 vcc, s2, v8
	s_and_saveexec_b64 s[0:1], vcc
	s_cbranch_execz .LBB11_11
; %bb.10:
	global_load_dwordx2 v[3:4], v[5:6], off offset:1024
.LBB11_11:
	s_or_b64 exec, exec, s[0:1]
	s_waitcnt vmcnt(0)
	v_add_f64 v[3:4], v[1:2], v[3:4]
	v_mbcnt_hi_u32_b32 v5, -1, v7
	v_and_b32_e32 v7, 63, v5
	v_cmp_ne_u32_e64 s[0:1], 63, v7
	v_addc_co_u32_e64 v6, s[0:1], 0, v5, s[0:1]
	s_min_u32 s2, s2, 0x80
	v_add_u32_e32 v8, 1, v5
	v_cndmask_b32_e32 v2, v2, v4, vcc
	v_cndmask_b32_e32 v1, v1, v3, vcc
	v_lshlrev_b32_e32 v4, 2, v6
	ds_bpermute_b32 v3, v4, v1
	ds_bpermute_b32 v4, v4, v2
	v_and_b32_e32 v6, 64, v0
	v_sub_u32_e64 v6, s2, v6 clamp
	v_cmp_lt_u32_e32 vcc, v8, v6
	s_and_saveexec_b64 s[0:1], vcc
	s_cbranch_execz .LBB11_13
; %bb.12:
	s_waitcnt lgkmcnt(0)
	v_add_f64 v[1:2], v[1:2], v[3:4]
.LBB11_13:
	s_or_b64 exec, exec, s[0:1]
	v_cmp_gt_u32_e32 vcc, 62, v7
	s_waitcnt lgkmcnt(1)
	v_cndmask_b32_e64 v3, 0, 1, vcc
	v_lshlrev_b32_e32 v3, 1, v3
	s_waitcnt lgkmcnt(0)
	v_add_lshl_u32 v4, v3, v5, 2
	ds_bpermute_b32 v3, v4, v1
	ds_bpermute_b32 v4, v4, v2
	v_add_u32_e32 v8, 2, v5
	v_cmp_lt_u32_e32 vcc, v8, v6
	s_and_saveexec_b64 s[0:1], vcc
	s_cbranch_execz .LBB11_15
; %bb.14:
	s_waitcnt lgkmcnt(0)
	v_add_f64 v[1:2], v[1:2], v[3:4]
.LBB11_15:
	s_or_b64 exec, exec, s[0:1]
	v_cmp_gt_u32_e32 vcc, 60, v7
	s_waitcnt lgkmcnt(1)
	v_cndmask_b32_e64 v3, 0, 1, vcc
	v_lshlrev_b32_e32 v3, 2, v3
	s_waitcnt lgkmcnt(0)
	v_add_lshl_u32 v4, v3, v5, 2
	ds_bpermute_b32 v3, v4, v1
	ds_bpermute_b32 v4, v4, v2
	v_add_u32_e32 v8, 4, v5
	;; [unrolled: 17-line block ×5, first 2 shown]
	v_cmp_lt_u32_e32 vcc, v7, v6
	s_waitcnt lgkmcnt(0)
	v_add_f64 v[3:4], v[1:2], v[3:4]
	v_cndmask_b32_e32 v2, v2, v4, vcc
	v_cndmask_b32_e32 v1, v1, v3, vcc
	v_cmp_eq_u32_e32 vcc, 0, v5
	s_and_saveexec_b64 s[0:1], vcc
	s_cbranch_execz .LBB11_23
; %bb.22:
	v_lshrrev_b32_e32 v3, 3, v0
	v_and_b32_e32 v3, 8, v3
	ds_write_b64 v3, v[1:2] offset:16
.LBB11_23:
	s_or_b64 exec, exec, s[0:1]
	v_cmp_gt_u32_e32 vcc, 2, v0
	s_waitcnt lgkmcnt(0)
	s_barrier
	s_and_saveexec_b64 s[0:1], vcc
	s_cbranch_execz .LBB11_25
; %bb.24:
	v_lshlrev_b32_e32 v1, 3, v5
	ds_read_b64 v[1:2], v1 offset:16
	v_lshl_or_b32 v4, v5, 2, 4
	s_add_i32 s2, s2, 63
	v_and_b32_e32 v5, 1, v5
	s_lshr_b32 s2, s2, 6
	s_waitcnt lgkmcnt(0)
	ds_bpermute_b32 v3, v4, v1
	ds_bpermute_b32 v4, v4, v2
	v_add_u32_e32 v5, 1, v5
	v_cmp_gt_u32_e32 vcc, s2, v5
	s_waitcnt lgkmcnt(0)
	v_add_f64 v[3:4], v[1:2], v[3:4]
	v_cndmask_b32_e32 v2, v2, v4, vcc
	v_cndmask_b32_e32 v1, v1, v3, vcc
.LBB11_25:
	s_or_b64 exec, exec, s[0:1]
.LBB11_26:
	v_cmp_eq_u32_e32 vcc, 0, v0
	s_and_saveexec_b64 s[0:1], vcc
	s_cbranch_execnz .LBB11_28
; %bb.27:
	s_endpgm
.LBB11_28:
	v_add_f64 v[0:1], v[1:2], s[14:15]
	s_lshl_b64 s[0:1], s[6:7], 3
	s_add_u32 s0, s12, s0
	s_addc_u32 s1, s13, s1
	s_cmp_eq_u64 s[10:11], 0
	v_mov_b32_e32 v3, s15
	s_cselect_b64 vcc, -1, 0
	v_mov_b32_e32 v2, 0
	v_cndmask_b32_e32 v1, v1, v3, vcc
	v_mov_b32_e32 v3, s14
	v_cndmask_b32_e32 v0, v0, v3, vcc
	global_store_dwordx2 v2, v[0:1], s[0:1]
	s_endpgm
	.section	.rodata,"a",@progbits
	.p2align	6, 0x0
	.amdhsa_kernel _ZN7rocprim6detail19block_reduce_kernelILb1ELb0ELj2ENS0_21wrapped_reduce_configINS_14default_configEdEEdPdS5_dN6thrust4plusIdEEEEvT4_mT5_T6_T7_
		.amdhsa_group_segment_fixed_size 32
		.amdhsa_private_segment_fixed_size 0
		.amdhsa_kernarg_size 36
		.amdhsa_user_sgpr_count 6
		.amdhsa_user_sgpr_private_segment_buffer 1
		.amdhsa_user_sgpr_dispatch_ptr 0
		.amdhsa_user_sgpr_queue_ptr 0
		.amdhsa_user_sgpr_kernarg_segment_ptr 1
		.amdhsa_user_sgpr_dispatch_id 0
		.amdhsa_user_sgpr_flat_scratch_init 0
		.amdhsa_user_sgpr_private_segment_size 0
		.amdhsa_uses_dynamic_stack 0
		.amdhsa_system_sgpr_private_segment_wavefront_offset 0
		.amdhsa_system_sgpr_workgroup_id_x 1
		.amdhsa_system_sgpr_workgroup_id_y 0
		.amdhsa_system_sgpr_workgroup_id_z 0
		.amdhsa_system_sgpr_workgroup_info 0
		.amdhsa_system_vgpr_workitem_id 0
		.amdhsa_next_free_vgpr 9
		.amdhsa_next_free_sgpr 16
		.amdhsa_reserve_vcc 1
		.amdhsa_reserve_flat_scratch 0
		.amdhsa_float_round_mode_32 0
		.amdhsa_float_round_mode_16_64 0
		.amdhsa_float_denorm_mode_32 3
		.amdhsa_float_denorm_mode_16_64 3
		.amdhsa_dx10_clamp 1
		.amdhsa_ieee_mode 1
		.amdhsa_fp16_overflow 0
		.amdhsa_exception_fp_ieee_invalid_op 0
		.amdhsa_exception_fp_denorm_src 0
		.amdhsa_exception_fp_ieee_div_zero 0
		.amdhsa_exception_fp_ieee_overflow 0
		.amdhsa_exception_fp_ieee_underflow 0
		.amdhsa_exception_fp_ieee_inexact 0
		.amdhsa_exception_int_div_zero 0
	.end_amdhsa_kernel
	.section	.text._ZN7rocprim6detail19block_reduce_kernelILb1ELb0ELj2ENS0_21wrapped_reduce_configINS_14default_configEdEEdPdS5_dN6thrust4plusIdEEEEvT4_mT5_T6_T7_,"axG",@progbits,_ZN7rocprim6detail19block_reduce_kernelILb1ELb0ELj2ENS0_21wrapped_reduce_configINS_14default_configEdEEdPdS5_dN6thrust4plusIdEEEEvT4_mT5_T6_T7_,comdat
.Lfunc_end11:
	.size	_ZN7rocprim6detail19block_reduce_kernelILb1ELb0ELj2ENS0_21wrapped_reduce_configINS_14default_configEdEEdPdS5_dN6thrust4plusIdEEEEvT4_mT5_T6_T7_, .Lfunc_end11-_ZN7rocprim6detail19block_reduce_kernelILb1ELb0ELj2ENS0_21wrapped_reduce_configINS_14default_configEdEEdPdS5_dN6thrust4plusIdEEEEvT4_mT5_T6_T7_
                                        ; -- End function
	.section	.AMDGPU.csdata,"",@progbits
; Kernel info:
; codeLenInByte = 1212
; NumSgprs: 20
; NumVgprs: 9
; ScratchSize: 0
; MemoryBound: 1
; FloatMode: 240
; IeeeMode: 1
; LDSByteSize: 32 bytes/workgroup (compile time only)
; SGPRBlocks: 2
; VGPRBlocks: 2
; NumSGPRsForWavesPerEU: 20
; NumVGPRsForWavesPerEU: 9
; Occupancy: 8
; WaveLimiterHint : 1
; COMPUTE_PGM_RSRC2:SCRATCH_EN: 0
; COMPUTE_PGM_RSRC2:USER_SGPR: 6
; COMPUTE_PGM_RSRC2:TRAP_HANDLER: 0
; COMPUTE_PGM_RSRC2:TGID_X_EN: 1
; COMPUTE_PGM_RSRC2:TGID_Y_EN: 0
; COMPUTE_PGM_RSRC2:TGID_Z_EN: 0
; COMPUTE_PGM_RSRC2:TIDIG_COMP_CNT: 0
	.section	.text._ZN7rocprim6detail19block_reduce_kernelILb1ELb0ELj1ENS0_21wrapped_reduce_configINS_14default_configEdEEdPdS5_dN6thrust4plusIdEEEEvT4_mT5_T6_T7_,"axG",@progbits,_ZN7rocprim6detail19block_reduce_kernelILb1ELb0ELj1ENS0_21wrapped_reduce_configINS_14default_configEdEEdPdS5_dN6thrust4plusIdEEEEvT4_mT5_T6_T7_,comdat
	.protected	_ZN7rocprim6detail19block_reduce_kernelILb1ELb0ELj1ENS0_21wrapped_reduce_configINS_14default_configEdEEdPdS5_dN6thrust4plusIdEEEEvT4_mT5_T6_T7_ ; -- Begin function _ZN7rocprim6detail19block_reduce_kernelILb1ELb0ELj1ENS0_21wrapped_reduce_configINS_14default_configEdEEdPdS5_dN6thrust4plusIdEEEEvT4_mT5_T6_T7_
	.globl	_ZN7rocprim6detail19block_reduce_kernelILb1ELb0ELj1ENS0_21wrapped_reduce_configINS_14default_configEdEEdPdS5_dN6thrust4plusIdEEEEvT4_mT5_T6_T7_
	.p2align	8
	.type	_ZN7rocprim6detail19block_reduce_kernelILb1ELb0ELj1ENS0_21wrapped_reduce_configINS_14default_configEdEEdPdS5_dN6thrust4plusIdEEEEvT4_mT5_T6_T7_,@function
_ZN7rocprim6detail19block_reduce_kernelILb1ELb0ELj1ENS0_21wrapped_reduce_configINS_14default_configEdEEdPdS5_dN6thrust4plusIdEEEEvT4_mT5_T6_T7_: ; @_ZN7rocprim6detail19block_reduce_kernelILb1ELb0ELj1ENS0_21wrapped_reduce_configINS_14default_configEdEEdPdS5_dN6thrust4plusIdEEEEvT4_mT5_T6_T7_
; %bb.0:
	s_load_dwordx8 s[8:15], s[4:5], 0x0
	s_lshl_b32 s0, s6, 9
	s_mov_b32 s1, 0
	s_lshl_b64 s[4:5], s[0:1], 3
	s_mov_b32 s7, s1
	s_waitcnt lgkmcnt(0)
	s_lshr_b64 s[2:3], s[10:11], 9
	s_add_u32 s1, s8, s4
	s_addc_u32 s4, s9, s5
	v_lshlrev_b32_e32 v1, 3, v0
	v_mov_b32_e32 v2, s4
	v_add_co_u32_e32 v9, vcc, s1, v1
	s_cmp_lg_u64 s[2:3], s[6:7]
	v_addc_co_u32_e32 v10, vcc, 0, v2, vcc
	v_mbcnt_lo_u32_b32 v11, -1, 0
	s_cbranch_scc0 .LBB12_6
; %bb.1:
	global_load_dwordx2 v[1:2], v[9:10], off
	global_load_dwordx2 v[3:4], v[9:10], off offset:1024
	global_load_dwordx2 v[5:6], v[9:10], off offset:2048
	;; [unrolled: 1-line block ×3, first 2 shown]
	s_waitcnt vmcnt(2)
	v_add_f64 v[1:2], v[1:2], v[3:4]
	s_waitcnt vmcnt(1)
	v_add_f64 v[1:2], v[1:2], v[5:6]
	;; [unrolled: 2-line block ×3, first 2 shown]
	s_nop 1
	v_mov_b32_dpp v3, v1 quad_perm:[1,0,3,2] row_mask:0xf bank_mask:0xf
	v_mov_b32_dpp v4, v2 quad_perm:[1,0,3,2] row_mask:0xf bank_mask:0xf
	v_add_f64 v[1:2], v[1:2], v[3:4]
	s_nop 1
	v_mov_b32_dpp v3, v1 quad_perm:[2,3,0,1] row_mask:0xf bank_mask:0xf
	v_mov_b32_dpp v4, v2 quad_perm:[2,3,0,1] row_mask:0xf bank_mask:0xf
	v_add_f64 v[1:2], v[1:2], v[3:4]
	s_nop 1
	v_mov_b32_dpp v3, v1 row_ror:4 row_mask:0xf bank_mask:0xf
	v_mov_b32_dpp v4, v2 row_ror:4 row_mask:0xf bank_mask:0xf
	v_add_f64 v[1:2], v[1:2], v[3:4]
	s_nop 1
	v_mov_b32_dpp v3, v1 row_ror:8 row_mask:0xf bank_mask:0xf
	v_mov_b32_dpp v4, v2 row_ror:8 row_mask:0xf bank_mask:0xf
	v_add_f64 v[1:2], v[1:2], v[3:4]
	s_nop 1
	v_mov_b32_dpp v3, v1 row_bcast:15 row_mask:0xf bank_mask:0xf
	v_mov_b32_dpp v4, v2 row_bcast:15 row_mask:0xf bank_mask:0xf
	v_add_f64 v[1:2], v[1:2], v[3:4]
	s_nop 1
	v_mov_b32_dpp v3, v1 row_bcast:31 row_mask:0xf bank_mask:0xf
	v_mov_b32_dpp v4, v2 row_bcast:31 row_mask:0xf bank_mask:0xf
	v_add_f64 v[1:2], v[1:2], v[3:4]
	v_mbcnt_hi_u32_b32 v4, -1, v11
	v_lshlrev_b32_e32 v3, 2, v4
	v_or_b32_e32 v5, 0xfc, v3
	v_cmp_eq_u32_e32 vcc, 0, v4
	ds_bpermute_b32 v1, v5, v1
	ds_bpermute_b32 v2, v5, v2
	s_and_saveexec_b64 s[2:3], vcc
	s_cbranch_execz .LBB12_3
; %bb.2:
	v_lshrrev_b32_e32 v5, 3, v0
	v_and_b32_e32 v5, 8, v5
	s_waitcnt lgkmcnt(0)
	ds_write_b64 v5, v[1:2]
.LBB12_3:
	s_or_b64 exec, exec, s[2:3]
	v_cmp_gt_u32_e32 vcc, 64, v0
	s_waitcnt lgkmcnt(0)
	s_barrier
	s_and_saveexec_b64 s[2:3], vcc
	s_cbranch_execz .LBB12_5
; %bb.4:
	v_and_b32_e32 v1, 1, v4
	v_lshlrev_b32_e32 v1, 3, v1
	ds_read_b64 v[1:2], v1
	v_or_b32_e32 v4, 4, v3
	s_waitcnt lgkmcnt(0)
	ds_bpermute_b32 v3, v4, v1
	ds_bpermute_b32 v4, v4, v2
	s_waitcnt lgkmcnt(0)
	v_add_f64 v[1:2], v[1:2], v[3:4]
.LBB12_5:
	s_or_b64 exec, exec, s[2:3]
	s_branch .LBB12_30
.LBB12_6:
                                        ; implicit-def: $vgpr1_vgpr2
	s_cbranch_execz .LBB12_30
; %bb.7:
	s_sub_i32 s8, s10, s0
	v_cmp_gt_u32_e32 vcc, s8, v0
                                        ; implicit-def: $vgpr1_vgpr2_vgpr3_vgpr4_vgpr5_vgpr6_vgpr7_vgpr8
	s_and_saveexec_b64 s[0:1], vcc
	s_cbranch_execz .LBB12_9
; %bb.8:
	global_load_dwordx2 v[1:2], v[9:10], off
.LBB12_9:
	s_or_b64 exec, exec, s[0:1]
	v_or_b32_e32 v12, 0x80, v0
	v_cmp_gt_u32_e32 vcc, s8, v12
	s_and_saveexec_b64 s[0:1], vcc
	s_cbranch_execz .LBB12_11
; %bb.10:
	global_load_dwordx2 v[3:4], v[9:10], off offset:1024
.LBB12_11:
	s_or_b64 exec, exec, s[0:1]
	v_or_b32_e32 v12, 0x100, v0
	v_cmp_gt_u32_e64 s[2:3], s8, v12
	s_and_saveexec_b64 s[0:1], s[2:3]
	s_cbranch_execz .LBB12_13
; %bb.12:
	global_load_dwordx2 v[5:6], v[9:10], off offset:2048
.LBB12_13:
	s_or_b64 exec, exec, s[0:1]
	v_or_b32_e32 v12, 0x180, v0
	v_cmp_gt_u32_e64 s[0:1], s8, v12
	s_and_saveexec_b64 s[4:5], s[0:1]
	s_cbranch_execz .LBB12_15
; %bb.14:
	global_load_dwordx2 v[7:8], v[9:10], off offset:3072
.LBB12_15:
	s_or_b64 exec, exec, s[4:5]
	s_waitcnt vmcnt(0)
	v_add_f64 v[3:4], v[1:2], v[3:4]
	v_cndmask_b32_e32 v2, v2, v4, vcc
	v_cndmask_b32_e32 v1, v1, v3, vcc
	v_add_f64 v[3:4], v[5:6], v[1:2]
	v_mbcnt_hi_u32_b32 v5, -1, v11
	v_cndmask_b32_e64 v2, v2, v4, s[2:3]
	v_cndmask_b32_e64 v1, v1, v3, s[2:3]
	v_add_f64 v[3:4], v[7:8], v[1:2]
	v_and_b32_e32 v7, 63, v5
	v_cmp_ne_u32_e32 vcc, 63, v7
	v_addc_co_u32_e32 v6, vcc, 0, v5, vcc
	v_lshlrev_b32_e32 v6, 2, v6
	s_min_u32 s2, s8, 0x80
	v_add_u32_e32 v8, 1, v5
	v_cndmask_b32_e64 v2, v2, v4, s[0:1]
	v_cndmask_b32_e64 v1, v1, v3, s[0:1]
	ds_bpermute_b32 v3, v6, v1
	ds_bpermute_b32 v4, v6, v2
	v_and_b32_e32 v6, 64, v0
	v_sub_u32_e64 v6, s2, v6 clamp
	v_cmp_lt_u32_e32 vcc, v8, v6
	s_and_saveexec_b64 s[0:1], vcc
	s_cbranch_execz .LBB12_17
; %bb.16:
	s_waitcnt lgkmcnt(0)
	v_add_f64 v[1:2], v[1:2], v[3:4]
.LBB12_17:
	s_or_b64 exec, exec, s[0:1]
	v_cmp_gt_u32_e32 vcc, 62, v7
	s_waitcnt lgkmcnt(1)
	v_cndmask_b32_e64 v3, 0, 1, vcc
	v_lshlrev_b32_e32 v3, 1, v3
	s_waitcnt lgkmcnt(0)
	v_add_lshl_u32 v4, v3, v5, 2
	ds_bpermute_b32 v3, v4, v1
	ds_bpermute_b32 v4, v4, v2
	v_add_u32_e32 v8, 2, v5
	v_cmp_lt_u32_e32 vcc, v8, v6
	s_and_saveexec_b64 s[0:1], vcc
	s_cbranch_execz .LBB12_19
; %bb.18:
	s_waitcnt lgkmcnt(0)
	v_add_f64 v[1:2], v[1:2], v[3:4]
.LBB12_19:
	s_or_b64 exec, exec, s[0:1]
	v_cmp_gt_u32_e32 vcc, 60, v7
	s_waitcnt lgkmcnt(1)
	v_cndmask_b32_e64 v3, 0, 1, vcc
	v_lshlrev_b32_e32 v3, 2, v3
	s_waitcnt lgkmcnt(0)
	v_add_lshl_u32 v4, v3, v5, 2
	ds_bpermute_b32 v3, v4, v1
	ds_bpermute_b32 v4, v4, v2
	v_add_u32_e32 v8, 4, v5
	;; [unrolled: 17-line block ×5, first 2 shown]
	v_cmp_lt_u32_e32 vcc, v7, v6
	s_waitcnt lgkmcnt(0)
	v_add_f64 v[3:4], v[1:2], v[3:4]
	v_cndmask_b32_e32 v2, v2, v4, vcc
	v_cndmask_b32_e32 v1, v1, v3, vcc
	v_cmp_eq_u32_e32 vcc, 0, v5
	s_and_saveexec_b64 s[0:1], vcc
	s_cbranch_execz .LBB12_27
; %bb.26:
	v_lshrrev_b32_e32 v3, 3, v0
	v_and_b32_e32 v3, 8, v3
	ds_write_b64 v3, v[1:2] offset:16
.LBB12_27:
	s_or_b64 exec, exec, s[0:1]
	v_cmp_gt_u32_e32 vcc, 2, v0
	s_waitcnt lgkmcnt(0)
	s_barrier
	s_and_saveexec_b64 s[0:1], vcc
	s_cbranch_execz .LBB12_29
; %bb.28:
	v_lshlrev_b32_e32 v1, 3, v5
	ds_read_b64 v[1:2], v1 offset:16
	v_lshl_or_b32 v4, v5, 2, 4
	s_add_i32 s2, s2, 63
	v_and_b32_e32 v5, 1, v5
	s_lshr_b32 s2, s2, 6
	s_waitcnt lgkmcnt(0)
	ds_bpermute_b32 v3, v4, v1
	ds_bpermute_b32 v4, v4, v2
	v_add_u32_e32 v5, 1, v5
	v_cmp_gt_u32_e32 vcc, s2, v5
	s_waitcnt lgkmcnt(0)
	v_add_f64 v[3:4], v[1:2], v[3:4]
	v_cndmask_b32_e32 v2, v2, v4, vcc
	v_cndmask_b32_e32 v1, v1, v3, vcc
.LBB12_29:
	s_or_b64 exec, exec, s[0:1]
.LBB12_30:
	v_cmp_eq_u32_e32 vcc, 0, v0
	s_and_saveexec_b64 s[0:1], vcc
	s_cbranch_execnz .LBB12_32
; %bb.31:
	s_endpgm
.LBB12_32:
	v_add_f64 v[0:1], v[1:2], s[14:15]
	s_lshl_b64 s[0:1], s[6:7], 3
	s_add_u32 s0, s12, s0
	s_addc_u32 s1, s13, s1
	s_cmp_eq_u64 s[10:11], 0
	v_mov_b32_e32 v3, s15
	s_cselect_b64 vcc, -1, 0
	v_mov_b32_e32 v2, 0
	v_cndmask_b32_e32 v1, v1, v3, vcc
	v_mov_b32_e32 v3, s14
	v_cndmask_b32_e32 v0, v0, v3, vcc
	global_store_dwordx2 v2, v[0:1], s[0:1]
	s_endpgm
	.section	.rodata,"a",@progbits
	.p2align	6, 0x0
	.amdhsa_kernel _ZN7rocprim6detail19block_reduce_kernelILb1ELb0ELj1ENS0_21wrapped_reduce_configINS_14default_configEdEEdPdS5_dN6thrust4plusIdEEEEvT4_mT5_T6_T7_
		.amdhsa_group_segment_fixed_size 32
		.amdhsa_private_segment_fixed_size 0
		.amdhsa_kernarg_size 36
		.amdhsa_user_sgpr_count 6
		.amdhsa_user_sgpr_private_segment_buffer 1
		.amdhsa_user_sgpr_dispatch_ptr 0
		.amdhsa_user_sgpr_queue_ptr 0
		.amdhsa_user_sgpr_kernarg_segment_ptr 1
		.amdhsa_user_sgpr_dispatch_id 0
		.amdhsa_user_sgpr_flat_scratch_init 0
		.amdhsa_user_sgpr_private_segment_size 0
		.amdhsa_uses_dynamic_stack 0
		.amdhsa_system_sgpr_private_segment_wavefront_offset 0
		.amdhsa_system_sgpr_workgroup_id_x 1
		.amdhsa_system_sgpr_workgroup_id_y 0
		.amdhsa_system_sgpr_workgroup_id_z 0
		.amdhsa_system_sgpr_workgroup_info 0
		.amdhsa_system_vgpr_workitem_id 0
		.amdhsa_next_free_vgpr 13
		.amdhsa_next_free_sgpr 16
		.amdhsa_reserve_vcc 1
		.amdhsa_reserve_flat_scratch 0
		.amdhsa_float_round_mode_32 0
		.amdhsa_float_round_mode_16_64 0
		.amdhsa_float_denorm_mode_32 3
		.amdhsa_float_denorm_mode_16_64 3
		.amdhsa_dx10_clamp 1
		.amdhsa_ieee_mode 1
		.amdhsa_fp16_overflow 0
		.amdhsa_exception_fp_ieee_invalid_op 0
		.amdhsa_exception_fp_denorm_src 0
		.amdhsa_exception_fp_ieee_div_zero 0
		.amdhsa_exception_fp_ieee_overflow 0
		.amdhsa_exception_fp_ieee_underflow 0
		.amdhsa_exception_fp_ieee_inexact 0
		.amdhsa_exception_int_div_zero 0
	.end_amdhsa_kernel
	.section	.text._ZN7rocprim6detail19block_reduce_kernelILb1ELb0ELj1ENS0_21wrapped_reduce_configINS_14default_configEdEEdPdS5_dN6thrust4plusIdEEEEvT4_mT5_T6_T7_,"axG",@progbits,_ZN7rocprim6detail19block_reduce_kernelILb1ELb0ELj1ENS0_21wrapped_reduce_configINS_14default_configEdEEdPdS5_dN6thrust4plusIdEEEEvT4_mT5_T6_T7_,comdat
.Lfunc_end12:
	.size	_ZN7rocprim6detail19block_reduce_kernelILb1ELb0ELj1ENS0_21wrapped_reduce_configINS_14default_configEdEEdPdS5_dN6thrust4plusIdEEEEvT4_mT5_T6_T7_, .Lfunc_end12-_ZN7rocprim6detail19block_reduce_kernelILb1ELb0ELj1ENS0_21wrapped_reduce_configINS_14default_configEdEEdPdS5_dN6thrust4plusIdEEEEvT4_mT5_T6_T7_
                                        ; -- End function
	.section	.AMDGPU.csdata,"",@progbits
; Kernel info:
; codeLenInByte = 1364
; NumSgprs: 20
; NumVgprs: 13
; ScratchSize: 0
; MemoryBound: 1
; FloatMode: 240
; IeeeMode: 1
; LDSByteSize: 32 bytes/workgroup (compile time only)
; SGPRBlocks: 2
; VGPRBlocks: 3
; NumSGPRsForWavesPerEU: 20
; NumVGPRsForWavesPerEU: 13
; Occupancy: 8
; WaveLimiterHint : 1
; COMPUTE_PGM_RSRC2:SCRATCH_EN: 0
; COMPUTE_PGM_RSRC2:USER_SGPR: 6
; COMPUTE_PGM_RSRC2:TRAP_HANDLER: 0
; COMPUTE_PGM_RSRC2:TGID_X_EN: 1
; COMPUTE_PGM_RSRC2:TGID_Y_EN: 0
; COMPUTE_PGM_RSRC2:TGID_Z_EN: 0
; COMPUTE_PGM_RSRC2:TIDIG_COMP_CNT: 0
	.section	.text._ZN7rocprim6detail19block_reduce_kernelILb0ELb1ELj1ENS0_21wrapped_reduce_configINS_14default_configEdEEdN6thrust11hip_rocprim26transform_input_iterator_tIdNS5_6detail15normal_iteratorINS5_10device_ptrIdEEEEZ4mainEUldE_EEPddNS5_4plusIdEEEEvT4_mT5_T6_T7_,"axG",@progbits,_ZN7rocprim6detail19block_reduce_kernelILb0ELb1ELj1ENS0_21wrapped_reduce_configINS_14default_configEdEEdN6thrust11hip_rocprim26transform_input_iterator_tIdNS5_6detail15normal_iteratorINS5_10device_ptrIdEEEEZ4mainEUldE_EEPddNS5_4plusIdEEEEvT4_mT5_T6_T7_,comdat
	.globl	_ZN7rocprim6detail19block_reduce_kernelILb0ELb1ELj1ENS0_21wrapped_reduce_configINS_14default_configEdEEdN6thrust11hip_rocprim26transform_input_iterator_tIdNS5_6detail15normal_iteratorINS5_10device_ptrIdEEEEZ4mainEUldE_EEPddNS5_4plusIdEEEEvT4_mT5_T6_T7_ ; -- Begin function _ZN7rocprim6detail19block_reduce_kernelILb0ELb1ELj1ENS0_21wrapped_reduce_configINS_14default_configEdEEdN6thrust11hip_rocprim26transform_input_iterator_tIdNS5_6detail15normal_iteratorINS5_10device_ptrIdEEEEZ4mainEUldE_EEPddNS5_4plusIdEEEEvT4_mT5_T6_T7_
	.p2align	8
	.type	_ZN7rocprim6detail19block_reduce_kernelILb0ELb1ELj1ENS0_21wrapped_reduce_configINS_14default_configEdEEdN6thrust11hip_rocprim26transform_input_iterator_tIdNS5_6detail15normal_iteratorINS5_10device_ptrIdEEEEZ4mainEUldE_EEPddNS5_4plusIdEEEEvT4_mT5_T6_T7_,@function
_ZN7rocprim6detail19block_reduce_kernelILb0ELb1ELj1ENS0_21wrapped_reduce_configINS_14default_configEdEEdN6thrust11hip_rocprim26transform_input_iterator_tIdNS5_6detail15normal_iteratorINS5_10device_ptrIdEEEEZ4mainEUldE_EEPddNS5_4plusIdEEEEvT4_mT5_T6_T7_: ; @_ZN7rocprim6detail19block_reduce_kernelILb0ELb1ELj1ENS0_21wrapped_reduce_configINS_14default_configEdEEdN6thrust11hip_rocprim26transform_input_iterator_tIdNS5_6detail15normal_iteratorINS5_10device_ptrIdEEEEZ4mainEUldE_EEPddNS5_4plusIdEEEEvT4_mT5_T6_T7_
; %bb.0:
	s_load_dwordx2 s[2:3], s[4:5], 0x0
	s_load_dwordx4 s[8:11], s[4:5], 0x10
	s_load_dwordx2 s[12:13], s[4:5], 0x20
	s_lshl_b32 s0, s6, 9
	s_mov_b32 s1, 0
	s_lshl_b64 s[14:15], s[0:1], 3
	s_waitcnt lgkmcnt(0)
	s_lshr_b64 s[4:5], s[8:9], 9
	s_mov_b32 s7, s1
	s_add_u32 s1, s2, s14
	s_addc_u32 s2, s3, s15
	v_lshlrev_b32_e32 v1, 3, v0
	v_mov_b32_e32 v2, s2
	v_add_co_u32_e32 v9, vcc, s1, v1
	s_cmp_lg_u64 s[4:5], s[6:7]
	v_addc_co_u32_e32 v10, vcc, 0, v2, vcc
	v_mbcnt_lo_u32_b32 v11, -1, 0
	s_cbranch_scc0 .LBB13_6
; %bb.1:
	global_load_dwordx2 v[1:2], v[9:10], off
	global_load_dwordx2 v[3:4], v[9:10], off offset:1024
	global_load_dwordx2 v[5:6], v[9:10], off offset:2048
	;; [unrolled: 1-line block ×3, first 2 shown]
	s_waitcnt vmcnt(2)
	v_add_f64 v[1:2], |v[1:2]|, |v[3:4]|
	s_waitcnt vmcnt(1)
	v_add_f64 v[1:2], v[1:2], |v[5:6]|
	s_waitcnt vmcnt(0)
	v_add_f64 v[1:2], v[1:2], |v[7:8]|
	s_nop 1
	v_mov_b32_dpp v3, v1 quad_perm:[1,0,3,2] row_mask:0xf bank_mask:0xf
	v_mov_b32_dpp v4, v2 quad_perm:[1,0,3,2] row_mask:0xf bank_mask:0xf
	v_add_f64 v[1:2], v[1:2], v[3:4]
	s_nop 1
	v_mov_b32_dpp v3, v1 quad_perm:[2,3,0,1] row_mask:0xf bank_mask:0xf
	v_mov_b32_dpp v4, v2 quad_perm:[2,3,0,1] row_mask:0xf bank_mask:0xf
	v_add_f64 v[1:2], v[1:2], v[3:4]
	s_nop 1
	v_mov_b32_dpp v3, v1 row_ror:4 row_mask:0xf bank_mask:0xf
	v_mov_b32_dpp v4, v2 row_ror:4 row_mask:0xf bank_mask:0xf
	v_add_f64 v[1:2], v[1:2], v[3:4]
	s_nop 1
	v_mov_b32_dpp v3, v1 row_ror:8 row_mask:0xf bank_mask:0xf
	v_mov_b32_dpp v4, v2 row_ror:8 row_mask:0xf bank_mask:0xf
	v_add_f64 v[1:2], v[1:2], v[3:4]
	s_nop 1
	v_mov_b32_dpp v3, v1 row_bcast:15 row_mask:0xf bank_mask:0xf
	v_mov_b32_dpp v4, v2 row_bcast:15 row_mask:0xf bank_mask:0xf
	v_add_f64 v[1:2], v[1:2], v[3:4]
	s_nop 1
	v_mov_b32_dpp v3, v1 row_bcast:31 row_mask:0xf bank_mask:0xf
	v_mov_b32_dpp v4, v2 row_bcast:31 row_mask:0xf bank_mask:0xf
	v_add_f64 v[1:2], v[1:2], v[3:4]
	v_mbcnt_hi_u32_b32 v4, -1, v11
	v_lshlrev_b32_e32 v3, 2, v4
	v_or_b32_e32 v5, 0xfc, v3
	v_cmp_eq_u32_e32 vcc, 0, v4
	ds_bpermute_b32 v1, v5, v1
	ds_bpermute_b32 v2, v5, v2
	s_and_saveexec_b64 s[2:3], vcc
	s_cbranch_execz .LBB13_3
; %bb.2:
	v_lshrrev_b32_e32 v5, 3, v0
	v_and_b32_e32 v5, 8, v5
	s_waitcnt lgkmcnt(0)
	ds_write_b64 v5, v[1:2]
.LBB13_3:
	s_or_b64 exec, exec, s[2:3]
	v_cmp_gt_u32_e32 vcc, 64, v0
	s_waitcnt lgkmcnt(0)
	s_barrier
	s_and_saveexec_b64 s[2:3], vcc
	s_cbranch_execz .LBB13_5
; %bb.4:
	v_and_b32_e32 v1, 1, v4
	v_lshlrev_b32_e32 v1, 3, v1
	ds_read_b64 v[1:2], v1
	v_or_b32_e32 v4, 4, v3
	s_waitcnt lgkmcnt(0)
	ds_bpermute_b32 v3, v4, v1
	ds_bpermute_b32 v4, v4, v2
	s_waitcnt lgkmcnt(0)
	v_add_f64 v[1:2], v[1:2], v[3:4]
.LBB13_5:
	s_or_b64 exec, exec, s[2:3]
	s_branch .LBB13_30
.LBB13_6:
                                        ; implicit-def: $vgpr1_vgpr2
	s_cbranch_execz .LBB13_30
; %bb.7:
	s_sub_i32 s14, s8, s0
	v_cmp_gt_u32_e32 vcc, s14, v0
                                        ; implicit-def: $vgpr1_vgpr2_vgpr3_vgpr4_vgpr5_vgpr6_vgpr7_vgpr8
	s_and_saveexec_b64 s[0:1], vcc
	s_cbranch_execz .LBB13_9
; %bb.8:
	global_load_dwordx2 v[1:2], v[9:10], off
	s_waitcnt vmcnt(0)
	v_and_b32_e32 v2, 0x7fffffff, v2
.LBB13_9:
	s_or_b64 exec, exec, s[0:1]
	v_or_b32_e32 v12, 0x80, v0
	v_cmp_gt_u32_e32 vcc, s14, v12
	s_and_saveexec_b64 s[0:1], vcc
	s_cbranch_execz .LBB13_11
; %bb.10:
	global_load_dwordx2 v[3:4], v[9:10], off offset:1024
	s_waitcnt vmcnt(0)
	v_and_b32_e32 v4, 0x7fffffff, v4
.LBB13_11:
	s_or_b64 exec, exec, s[0:1]
	v_or_b32_e32 v12, 0x100, v0
	v_cmp_gt_u32_e64 s[2:3], s14, v12
	s_and_saveexec_b64 s[0:1], s[2:3]
	s_cbranch_execz .LBB13_13
; %bb.12:
	global_load_dwordx2 v[5:6], v[9:10], off offset:2048
	s_waitcnt vmcnt(0)
	v_and_b32_e32 v6, 0x7fffffff, v6
.LBB13_13:
	s_or_b64 exec, exec, s[0:1]
	v_or_b32_e32 v12, 0x180, v0
	v_cmp_gt_u32_e64 s[0:1], s14, v12
	s_and_saveexec_b64 s[4:5], s[0:1]
	s_cbranch_execz .LBB13_15
; %bb.14:
	global_load_dwordx2 v[7:8], v[9:10], off offset:3072
	s_waitcnt vmcnt(0)
	v_and_b32_e32 v8, 0x7fffffff, v8
.LBB13_15:
	s_or_b64 exec, exec, s[4:5]
	v_add_f64 v[3:4], v[1:2], v[3:4]
	v_cndmask_b32_e32 v2, v2, v4, vcc
	v_cndmask_b32_e32 v1, v1, v3, vcc
	v_add_f64 v[3:4], v[5:6], v[1:2]
	v_mbcnt_hi_u32_b32 v5, -1, v11
	v_cndmask_b32_e64 v2, v2, v4, s[2:3]
	v_cndmask_b32_e64 v1, v1, v3, s[2:3]
	v_add_f64 v[3:4], v[7:8], v[1:2]
	v_and_b32_e32 v7, 63, v5
	v_cmp_ne_u32_e32 vcc, 63, v7
	v_addc_co_u32_e32 v6, vcc, 0, v5, vcc
	v_lshlrev_b32_e32 v6, 2, v6
	s_min_u32 s2, s14, 0x80
	v_add_u32_e32 v8, 1, v5
	v_cndmask_b32_e64 v2, v2, v4, s[0:1]
	v_cndmask_b32_e64 v1, v1, v3, s[0:1]
	ds_bpermute_b32 v3, v6, v1
	ds_bpermute_b32 v4, v6, v2
	v_and_b32_e32 v6, 64, v0
	v_sub_u32_e64 v6, s2, v6 clamp
	v_cmp_lt_u32_e32 vcc, v8, v6
	s_and_saveexec_b64 s[0:1], vcc
	s_cbranch_execz .LBB13_17
; %bb.16:
	s_waitcnt lgkmcnt(0)
	v_add_f64 v[1:2], v[1:2], v[3:4]
.LBB13_17:
	s_or_b64 exec, exec, s[0:1]
	v_cmp_gt_u32_e32 vcc, 62, v7
	s_waitcnt lgkmcnt(1)
	v_cndmask_b32_e64 v3, 0, 1, vcc
	v_lshlrev_b32_e32 v3, 1, v3
	s_waitcnt lgkmcnt(0)
	v_add_lshl_u32 v4, v3, v5, 2
	ds_bpermute_b32 v3, v4, v1
	ds_bpermute_b32 v4, v4, v2
	v_add_u32_e32 v8, 2, v5
	v_cmp_lt_u32_e32 vcc, v8, v6
	s_and_saveexec_b64 s[0:1], vcc
	s_cbranch_execz .LBB13_19
; %bb.18:
	s_waitcnt lgkmcnt(0)
	v_add_f64 v[1:2], v[1:2], v[3:4]
.LBB13_19:
	s_or_b64 exec, exec, s[0:1]
	v_cmp_gt_u32_e32 vcc, 60, v7
	s_waitcnt lgkmcnt(1)
	v_cndmask_b32_e64 v3, 0, 1, vcc
	v_lshlrev_b32_e32 v3, 2, v3
	s_waitcnt lgkmcnt(0)
	v_add_lshl_u32 v4, v3, v5, 2
	ds_bpermute_b32 v3, v4, v1
	ds_bpermute_b32 v4, v4, v2
	v_add_u32_e32 v8, 4, v5
	;; [unrolled: 17-line block ×5, first 2 shown]
	v_cmp_lt_u32_e32 vcc, v7, v6
	s_waitcnt lgkmcnt(0)
	v_add_f64 v[3:4], v[1:2], v[3:4]
	v_cndmask_b32_e32 v2, v2, v4, vcc
	v_cndmask_b32_e32 v1, v1, v3, vcc
	v_cmp_eq_u32_e32 vcc, 0, v5
	s_and_saveexec_b64 s[0:1], vcc
	s_cbranch_execz .LBB13_27
; %bb.26:
	v_lshrrev_b32_e32 v3, 3, v0
	v_and_b32_e32 v3, 8, v3
	ds_write_b64 v3, v[1:2] offset:16
.LBB13_27:
	s_or_b64 exec, exec, s[0:1]
	v_cmp_gt_u32_e32 vcc, 2, v0
	s_waitcnt lgkmcnt(0)
	s_barrier
	s_and_saveexec_b64 s[0:1], vcc
	s_cbranch_execz .LBB13_29
; %bb.28:
	v_lshlrev_b32_e32 v1, 3, v5
	ds_read_b64 v[1:2], v1 offset:16
	v_lshl_or_b32 v4, v5, 2, 4
	s_add_i32 s2, s2, 63
	v_and_b32_e32 v5, 1, v5
	s_lshr_b32 s2, s2, 6
	s_waitcnt lgkmcnt(0)
	ds_bpermute_b32 v3, v4, v1
	ds_bpermute_b32 v4, v4, v2
	v_add_u32_e32 v5, 1, v5
	v_cmp_gt_u32_e32 vcc, s2, v5
	s_waitcnt lgkmcnt(0)
	v_add_f64 v[3:4], v[1:2], v[3:4]
	v_cndmask_b32_e32 v2, v2, v4, vcc
	v_cndmask_b32_e32 v1, v1, v3, vcc
.LBB13_29:
	s_or_b64 exec, exec, s[0:1]
.LBB13_30:
	v_cmp_eq_u32_e32 vcc, 0, v0
	s_and_saveexec_b64 s[0:1], vcc
	s_cbranch_execnz .LBB13_32
; %bb.31:
	s_endpgm
.LBB13_32:
	s_lshl_b64 s[0:1], s[6:7], 3
	s_add_u32 s0, s10, s0
	s_addc_u32 s1, s11, s1
	s_cmp_eq_u64 s[8:9], 0
	v_mov_b32_e32 v3, s13
	s_cselect_b64 vcc, -1, 0
	v_cndmask_b32_e32 v2, v2, v3, vcc
	v_mov_b32_e32 v3, s12
	v_mov_b32_e32 v0, 0
	v_cndmask_b32_e32 v1, v1, v3, vcc
	global_store_dwordx2 v0, v[1:2], s[0:1]
	s_endpgm
	.section	.rodata,"a",@progbits
	.p2align	6, 0x0
	.amdhsa_kernel _ZN7rocprim6detail19block_reduce_kernelILb0ELb1ELj1ENS0_21wrapped_reduce_configINS_14default_configEdEEdN6thrust11hip_rocprim26transform_input_iterator_tIdNS5_6detail15normal_iteratorINS5_10device_ptrIdEEEEZ4mainEUldE_EEPddNS5_4plusIdEEEEvT4_mT5_T6_T7_
		.amdhsa_group_segment_fixed_size 32
		.amdhsa_private_segment_fixed_size 0
		.amdhsa_kernarg_size 44
		.amdhsa_user_sgpr_count 6
		.amdhsa_user_sgpr_private_segment_buffer 1
		.amdhsa_user_sgpr_dispatch_ptr 0
		.amdhsa_user_sgpr_queue_ptr 0
		.amdhsa_user_sgpr_kernarg_segment_ptr 1
		.amdhsa_user_sgpr_dispatch_id 0
		.amdhsa_user_sgpr_flat_scratch_init 0
		.amdhsa_user_sgpr_private_segment_size 0
		.amdhsa_uses_dynamic_stack 0
		.amdhsa_system_sgpr_private_segment_wavefront_offset 0
		.amdhsa_system_sgpr_workgroup_id_x 1
		.amdhsa_system_sgpr_workgroup_id_y 0
		.amdhsa_system_sgpr_workgroup_id_z 0
		.amdhsa_system_sgpr_workgroup_info 0
		.amdhsa_system_vgpr_workitem_id 0
		.amdhsa_next_free_vgpr 13
		.amdhsa_next_free_sgpr 16
		.amdhsa_reserve_vcc 1
		.amdhsa_reserve_flat_scratch 0
		.amdhsa_float_round_mode_32 0
		.amdhsa_float_round_mode_16_64 0
		.amdhsa_float_denorm_mode_32 3
		.amdhsa_float_denorm_mode_16_64 3
		.amdhsa_dx10_clamp 1
		.amdhsa_ieee_mode 1
		.amdhsa_fp16_overflow 0
		.amdhsa_exception_fp_ieee_invalid_op 0
		.amdhsa_exception_fp_denorm_src 0
		.amdhsa_exception_fp_ieee_div_zero 0
		.amdhsa_exception_fp_ieee_overflow 0
		.amdhsa_exception_fp_ieee_underflow 0
		.amdhsa_exception_fp_ieee_inexact 0
		.amdhsa_exception_int_div_zero 0
	.end_amdhsa_kernel
	.section	.text._ZN7rocprim6detail19block_reduce_kernelILb0ELb1ELj1ENS0_21wrapped_reduce_configINS_14default_configEdEEdN6thrust11hip_rocprim26transform_input_iterator_tIdNS5_6detail15normal_iteratorINS5_10device_ptrIdEEEEZ4mainEUldE_EEPddNS5_4plusIdEEEEvT4_mT5_T6_T7_,"axG",@progbits,_ZN7rocprim6detail19block_reduce_kernelILb0ELb1ELj1ENS0_21wrapped_reduce_configINS_14default_configEdEEdN6thrust11hip_rocprim26transform_input_iterator_tIdNS5_6detail15normal_iteratorINS5_10device_ptrIdEEEEZ4mainEUldE_EEPddNS5_4plusIdEEEEvT4_mT5_T6_T7_,comdat
.Lfunc_end13:
	.size	_ZN7rocprim6detail19block_reduce_kernelILb0ELb1ELj1ENS0_21wrapped_reduce_configINS_14default_configEdEEdN6thrust11hip_rocprim26transform_input_iterator_tIdNS5_6detail15normal_iteratorINS5_10device_ptrIdEEEEZ4mainEUldE_EEPddNS5_4plusIdEEEEvT4_mT5_T6_T7_, .Lfunc_end13-_ZN7rocprim6detail19block_reduce_kernelILb0ELb1ELj1ENS0_21wrapped_reduce_configINS_14default_configEdEEdN6thrust11hip_rocprim26transform_input_iterator_tIdNS5_6detail15normal_iteratorINS5_10device_ptrIdEEEEZ4mainEUldE_EEPddNS5_4plusIdEEEEvT4_mT5_T6_T7_
                                        ; -- End function
	.section	.AMDGPU.csdata,"",@progbits
; Kernel info:
; codeLenInByte = 1416
; NumSgprs: 20
; NumVgprs: 13
; ScratchSize: 0
; MemoryBound: 0
; FloatMode: 240
; IeeeMode: 1
; LDSByteSize: 32 bytes/workgroup (compile time only)
; SGPRBlocks: 2
; VGPRBlocks: 3
; NumSGPRsForWavesPerEU: 20
; NumVGPRsForWavesPerEU: 13
; Occupancy: 8
; WaveLimiterHint : 1
; COMPUTE_PGM_RSRC2:SCRATCH_EN: 0
; COMPUTE_PGM_RSRC2:USER_SGPR: 6
; COMPUTE_PGM_RSRC2:TRAP_HANDLER: 0
; COMPUTE_PGM_RSRC2:TGID_X_EN: 1
; COMPUTE_PGM_RSRC2:TGID_Y_EN: 0
; COMPUTE_PGM_RSRC2:TGID_Z_EN: 0
; COMPUTE_PGM_RSRC2:TIDIG_COMP_CNT: 0
	.section	.text._ZN7rocprim6detail19block_reduce_kernelILb1ELb1ELj2ENS0_21wrapped_reduce_configINS_14default_configEdEEdN6thrust11hip_rocprim26transform_input_iterator_tIdNS5_6detail15normal_iteratorINS5_10device_ptrIdEEEEZ4mainEUldE_EEPddNS5_4plusIdEEEEvT4_mT5_T6_T7_,"axG",@progbits,_ZN7rocprim6detail19block_reduce_kernelILb1ELb1ELj2ENS0_21wrapped_reduce_configINS_14default_configEdEEdN6thrust11hip_rocprim26transform_input_iterator_tIdNS5_6detail15normal_iteratorINS5_10device_ptrIdEEEEZ4mainEUldE_EEPddNS5_4plusIdEEEEvT4_mT5_T6_T7_,comdat
	.globl	_ZN7rocprim6detail19block_reduce_kernelILb1ELb1ELj2ENS0_21wrapped_reduce_configINS_14default_configEdEEdN6thrust11hip_rocprim26transform_input_iterator_tIdNS5_6detail15normal_iteratorINS5_10device_ptrIdEEEEZ4mainEUldE_EEPddNS5_4plusIdEEEEvT4_mT5_T6_T7_ ; -- Begin function _ZN7rocprim6detail19block_reduce_kernelILb1ELb1ELj2ENS0_21wrapped_reduce_configINS_14default_configEdEEdN6thrust11hip_rocprim26transform_input_iterator_tIdNS5_6detail15normal_iteratorINS5_10device_ptrIdEEEEZ4mainEUldE_EEPddNS5_4plusIdEEEEvT4_mT5_T6_T7_
	.p2align	8
	.type	_ZN7rocprim6detail19block_reduce_kernelILb1ELb1ELj2ENS0_21wrapped_reduce_configINS_14default_configEdEEdN6thrust11hip_rocprim26transform_input_iterator_tIdNS5_6detail15normal_iteratorINS5_10device_ptrIdEEEEZ4mainEUldE_EEPddNS5_4plusIdEEEEvT4_mT5_T6_T7_,@function
_ZN7rocprim6detail19block_reduce_kernelILb1ELb1ELj2ENS0_21wrapped_reduce_configINS_14default_configEdEEdN6thrust11hip_rocprim26transform_input_iterator_tIdNS5_6detail15normal_iteratorINS5_10device_ptrIdEEEEZ4mainEUldE_EEPddNS5_4plusIdEEEEvT4_mT5_T6_T7_: ; @_ZN7rocprim6detail19block_reduce_kernelILb1ELb1ELj2ENS0_21wrapped_reduce_configINS_14default_configEdEEdN6thrust11hip_rocprim26transform_input_iterator_tIdNS5_6detail15normal_iteratorINS5_10device_ptrIdEEEEZ4mainEUldE_EEPddNS5_4plusIdEEEEvT4_mT5_T6_T7_
; %bb.0:
	s_load_dwordx2 s[2:3], s[4:5], 0x0
	s_load_dwordx4 s[16:19], s[4:5], 0x10
	s_load_dwordx2 s[20:21], s[4:5], 0x20
	s_lshl_b32 s0, s6, 10
	s_mov_b32 s1, 0
	s_lshl_b64 s[8:9], s[0:1], 3
	s_waitcnt lgkmcnt(0)
	s_lshr_b64 s[4:5], s[16:17], 10
	s_mov_b32 s7, s1
	s_add_u32 s1, s2, s8
	s_addc_u32 s2, s3, s9
	v_lshlrev_b32_e32 v1, 3, v0
	v_mov_b32_e32 v2, s2
	v_add_co_u32_e32 v17, vcc, s1, v1
	s_cmp_lg_u64 s[4:5], s[6:7]
	v_addc_co_u32_e32 v18, vcc, 0, v2, vcc
	v_mbcnt_lo_u32_b32 v19, -1, 0
	s_cbranch_scc0 .LBB14_6
; %bb.1:
	global_load_dwordx2 v[1:2], v[17:18], off
	global_load_dwordx2 v[3:4], v[17:18], off offset:1024
	global_load_dwordx2 v[5:6], v[17:18], off offset:2048
	;; [unrolled: 1-line block ×3, first 2 shown]
	v_add_co_u32_e32 v9, vcc, 0x1000, v17
	v_addc_co_u32_e32 v10, vcc, 0, v18, vcc
	global_load_dwordx2 v[11:12], v[9:10], off
	global_load_dwordx2 v[13:14], v[9:10], off offset:1024
	global_load_dwordx2 v[15:16], v[9:10], off offset:2048
	;; [unrolled: 1-line block ×3, first 2 shown]
	s_waitcnt vmcnt(6)
	v_add_f64 v[1:2], |v[1:2]|, |v[3:4]|
	s_waitcnt vmcnt(5)
	v_add_f64 v[1:2], v[1:2], |v[5:6]|
	s_waitcnt vmcnt(4)
	v_add_f64 v[1:2], v[1:2], |v[7:8]|
	;; [unrolled: 2-line block ×6, first 2 shown]
	s_nop 1
	v_mov_b32_dpp v3, v1 quad_perm:[1,0,3,2] row_mask:0xf bank_mask:0xf
	v_mov_b32_dpp v4, v2 quad_perm:[1,0,3,2] row_mask:0xf bank_mask:0xf
	v_add_f64 v[1:2], v[1:2], v[3:4]
	s_nop 1
	v_mov_b32_dpp v3, v1 quad_perm:[2,3,0,1] row_mask:0xf bank_mask:0xf
	v_mov_b32_dpp v4, v2 quad_perm:[2,3,0,1] row_mask:0xf bank_mask:0xf
	v_add_f64 v[1:2], v[1:2], v[3:4]
	s_nop 1
	v_mov_b32_dpp v3, v1 row_ror:4 row_mask:0xf bank_mask:0xf
	v_mov_b32_dpp v4, v2 row_ror:4 row_mask:0xf bank_mask:0xf
	v_add_f64 v[1:2], v[1:2], v[3:4]
	s_nop 1
	v_mov_b32_dpp v3, v1 row_ror:8 row_mask:0xf bank_mask:0xf
	v_mov_b32_dpp v4, v2 row_ror:8 row_mask:0xf bank_mask:0xf
	v_add_f64 v[1:2], v[1:2], v[3:4]
	s_nop 1
	v_mov_b32_dpp v3, v1 row_bcast:15 row_mask:0xf bank_mask:0xf
	v_mov_b32_dpp v4, v2 row_bcast:15 row_mask:0xf bank_mask:0xf
	v_add_f64 v[1:2], v[1:2], v[3:4]
	s_nop 1
	v_mov_b32_dpp v3, v1 row_bcast:31 row_mask:0xf bank_mask:0xf
	v_mov_b32_dpp v4, v2 row_bcast:31 row_mask:0xf bank_mask:0xf
	v_add_f64 v[1:2], v[1:2], v[3:4]
	v_mbcnt_hi_u32_b32 v4, -1, v19
	v_lshlrev_b32_e32 v3, 2, v4
	v_or_b32_e32 v5, 0xfc, v3
	v_cmp_eq_u32_e32 vcc, 0, v4
	ds_bpermute_b32 v1, v5, v1
	ds_bpermute_b32 v2, v5, v2
	s_and_saveexec_b64 s[2:3], vcc
	s_cbranch_execz .LBB14_3
; %bb.2:
	v_lshrrev_b32_e32 v5, 3, v0
	v_and_b32_e32 v5, 8, v5
	s_waitcnt lgkmcnt(0)
	ds_write_b64 v5, v[1:2]
.LBB14_3:
	s_or_b64 exec, exec, s[2:3]
	v_cmp_gt_u32_e32 vcc, 64, v0
	s_waitcnt lgkmcnt(0)
	s_barrier
	s_and_saveexec_b64 s[2:3], vcc
	s_cbranch_execz .LBB14_5
; %bb.4:
	v_and_b32_e32 v1, 1, v4
	v_lshlrev_b32_e32 v1, 3, v1
	ds_read_b64 v[1:2], v1
	v_or_b32_e32 v4, 4, v3
	s_waitcnt lgkmcnt(0)
	ds_bpermute_b32 v3, v4, v1
	ds_bpermute_b32 v4, v4, v2
	s_waitcnt lgkmcnt(0)
	v_add_f64 v[1:2], v[1:2], v[3:4]
.LBB14_5:
	s_or_b64 exec, exec, s[2:3]
	s_branch .LBB14_38
.LBB14_6:
                                        ; implicit-def: $vgpr1_vgpr2
	s_cbranch_execz .LBB14_38
; %bb.7:
	s_sub_i32 s24, s16, s0
	v_cmp_gt_u32_e32 vcc, s24, v0
                                        ; implicit-def: $vgpr1_vgpr2_vgpr3_vgpr4_vgpr5_vgpr6_vgpr7_vgpr8_vgpr9_vgpr10_vgpr11_vgpr12_vgpr13_vgpr14_vgpr15_vgpr16
	s_and_saveexec_b64 s[0:1], vcc
	s_cbranch_execz .LBB14_9
; %bb.8:
	global_load_dwordx2 v[1:2], v[17:18], off
	s_waitcnt vmcnt(0)
	v_and_b32_e32 v2, 0x7fffffff, v2
.LBB14_9:
	s_or_b64 exec, exec, s[0:1]
	v_or_b32_e32 v20, 0x80, v0
	v_cmp_gt_u32_e64 s[0:1], s24, v20
	s_and_saveexec_b64 s[2:3], s[0:1]
	s_cbranch_execz .LBB14_11
; %bb.10:
	global_load_dwordx2 v[3:4], v[17:18], off offset:1024
	s_waitcnt vmcnt(0)
	v_and_b32_e32 v4, 0x7fffffff, v4
.LBB14_11:
	s_or_b64 exec, exec, s[2:3]
	v_or_b32_e32 v20, 0x100, v0
	v_cmp_gt_u32_e64 s[2:3], s24, v20
	s_and_saveexec_b64 s[4:5], s[2:3]
	s_cbranch_execz .LBB14_13
; %bb.12:
	global_load_dwordx2 v[5:6], v[17:18], off offset:2048
	s_waitcnt vmcnt(0)
	v_and_b32_e32 v6, 0x7fffffff, v6
.LBB14_13:
	;; [unrolled: 10-line block ×3, first 2 shown]
	s_or_b64 exec, exec, s[8:9]
	v_or_b32_e32 v20, 0x200, v0
	v_cmp_gt_u32_e64 s[8:9], s24, v20
	s_and_saveexec_b64 s[10:11], s[8:9]
	s_cbranch_execz .LBB14_17
; %bb.16:
	v_add_co_u32_e32 v9, vcc, 0x1000, v17
	v_addc_co_u32_e32 v10, vcc, 0, v18, vcc
	global_load_dwordx2 v[9:10], v[9:10], off
	s_waitcnt vmcnt(0)
	v_and_b32_e32 v10, 0x7fffffff, v10
.LBB14_17:
	s_or_b64 exec, exec, s[10:11]
	v_or_b32_e32 v20, 0x280, v0
	v_cmp_gt_u32_e64 s[10:11], s24, v20
	s_and_saveexec_b64 s[12:13], s[10:11]
	s_cbranch_execz .LBB14_19
; %bb.18:
	v_add_co_u32_e32 v11, vcc, 0x1000, v17
	v_addc_co_u32_e32 v12, vcc, 0, v18, vcc
	global_load_dwordx2 v[11:12], v[11:12], off offset:1024
	s_waitcnt vmcnt(0)
	v_and_b32_e32 v12, 0x7fffffff, v12
.LBB14_19:
	s_or_b64 exec, exec, s[12:13]
	v_or_b32_e32 v20, 0x300, v0
	v_cmp_gt_u32_e64 s[12:13], s24, v20
	s_and_saveexec_b64 s[14:15], s[12:13]
	s_cbranch_execz .LBB14_21
; %bb.20:
	v_add_co_u32_e32 v13, vcc, 0x1000, v17
	v_addc_co_u32_e32 v14, vcc, 0, v18, vcc
	global_load_dwordx2 v[13:14], v[13:14], off offset:2048
	s_waitcnt vmcnt(0)
	v_and_b32_e32 v14, 0x7fffffff, v14
.LBB14_21:
	;; [unrolled: 12-line block ×3, first 2 shown]
	s_or_b64 exec, exec, s[22:23]
	v_add_f64 v[3:4], v[1:2], v[3:4]
	v_cndmask_b32_e64 v2, v2, v4, s[0:1]
	v_cndmask_b32_e64 v1, v1, v3, s[0:1]
	v_add_f64 v[3:4], v[5:6], v[1:2]
	v_mbcnt_hi_u32_b32 v5, -1, v19
	v_cndmask_b32_e64 v2, v2, v4, s[2:3]
	v_cndmask_b32_e64 v1, v1, v3, s[2:3]
	v_add_f64 v[3:4], v[7:8], v[1:2]
	v_and_b32_e32 v7, 63, v5
	v_cmp_ne_u32_e32 vcc, 63, v7
	v_addc_co_u32_e32 v6, vcc, 0, v5, vcc
	v_lshlrev_b32_e32 v6, 2, v6
	s_min_u32 s2, s24, 0x80
	v_add_u32_e32 v8, 1, v5
	v_cndmask_b32_e64 v2, v2, v4, s[4:5]
	v_cndmask_b32_e64 v1, v1, v3, s[4:5]
	v_add_f64 v[3:4], v[9:10], v[1:2]
	v_cndmask_b32_e64 v2, v2, v4, s[8:9]
	v_cndmask_b32_e64 v1, v1, v3, s[8:9]
	v_add_f64 v[3:4], v[11:12], v[1:2]
	;; [unrolled: 3-line block ×4, first 2 shown]
	v_cndmask_b32_e64 v2, v2, v4, s[14:15]
	v_cndmask_b32_e64 v1, v1, v3, s[14:15]
	ds_bpermute_b32 v3, v6, v1
	ds_bpermute_b32 v4, v6, v2
	v_and_b32_e32 v6, 64, v0
	v_sub_u32_e64 v6, s2, v6 clamp
	v_cmp_lt_u32_e32 vcc, v8, v6
	s_and_saveexec_b64 s[0:1], vcc
	s_cbranch_execz .LBB14_25
; %bb.24:
	s_waitcnt lgkmcnt(0)
	v_add_f64 v[1:2], v[1:2], v[3:4]
.LBB14_25:
	s_or_b64 exec, exec, s[0:1]
	v_cmp_gt_u32_e32 vcc, 62, v7
	s_waitcnt lgkmcnt(1)
	v_cndmask_b32_e64 v3, 0, 1, vcc
	v_lshlrev_b32_e32 v3, 1, v3
	s_waitcnt lgkmcnt(0)
	v_add_lshl_u32 v4, v3, v5, 2
	ds_bpermute_b32 v3, v4, v1
	ds_bpermute_b32 v4, v4, v2
	v_add_u32_e32 v8, 2, v5
	v_cmp_lt_u32_e32 vcc, v8, v6
	s_and_saveexec_b64 s[0:1], vcc
	s_cbranch_execz .LBB14_27
; %bb.26:
	s_waitcnt lgkmcnt(0)
	v_add_f64 v[1:2], v[1:2], v[3:4]
.LBB14_27:
	s_or_b64 exec, exec, s[0:1]
	v_cmp_gt_u32_e32 vcc, 60, v7
	s_waitcnt lgkmcnt(1)
	v_cndmask_b32_e64 v3, 0, 1, vcc
	v_lshlrev_b32_e32 v3, 2, v3
	s_waitcnt lgkmcnt(0)
	v_add_lshl_u32 v4, v3, v5, 2
	ds_bpermute_b32 v3, v4, v1
	ds_bpermute_b32 v4, v4, v2
	v_add_u32_e32 v8, 4, v5
	;; [unrolled: 17-line block ×5, first 2 shown]
	v_cmp_lt_u32_e32 vcc, v7, v6
	s_waitcnt lgkmcnt(0)
	v_add_f64 v[3:4], v[1:2], v[3:4]
	v_cndmask_b32_e32 v2, v2, v4, vcc
	v_cndmask_b32_e32 v1, v1, v3, vcc
	v_cmp_eq_u32_e32 vcc, 0, v5
	s_and_saveexec_b64 s[0:1], vcc
	s_cbranch_execz .LBB14_35
; %bb.34:
	v_lshrrev_b32_e32 v3, 3, v0
	v_and_b32_e32 v3, 8, v3
	ds_write_b64 v3, v[1:2] offset:16
.LBB14_35:
	s_or_b64 exec, exec, s[0:1]
	v_cmp_gt_u32_e32 vcc, 2, v0
	s_waitcnt lgkmcnt(0)
	s_barrier
	s_and_saveexec_b64 s[0:1], vcc
	s_cbranch_execz .LBB14_37
; %bb.36:
	v_lshlrev_b32_e32 v1, 3, v5
	ds_read_b64 v[1:2], v1 offset:16
	v_lshl_or_b32 v4, v5, 2, 4
	s_add_i32 s2, s2, 63
	v_and_b32_e32 v5, 1, v5
	s_lshr_b32 s2, s2, 6
	s_waitcnt lgkmcnt(0)
	ds_bpermute_b32 v3, v4, v1
	ds_bpermute_b32 v4, v4, v2
	v_add_u32_e32 v5, 1, v5
	v_cmp_gt_u32_e32 vcc, s2, v5
	s_waitcnt lgkmcnt(0)
	v_add_f64 v[3:4], v[1:2], v[3:4]
	v_cndmask_b32_e32 v2, v2, v4, vcc
	v_cndmask_b32_e32 v1, v1, v3, vcc
.LBB14_37:
	s_or_b64 exec, exec, s[0:1]
.LBB14_38:
	v_cmp_eq_u32_e32 vcc, 0, v0
	s_and_saveexec_b64 s[0:1], vcc
	s_cbranch_execnz .LBB14_40
; %bb.39:
	s_endpgm
.LBB14_40:
	v_add_f64 v[0:1], v[1:2], s[20:21]
	s_lshl_b64 s[0:1], s[6:7], 3
	s_add_u32 s0, s18, s0
	s_addc_u32 s1, s19, s1
	s_cmp_eq_u64 s[16:17], 0
	v_mov_b32_e32 v3, s21
	s_cselect_b64 vcc, -1, 0
	v_mov_b32_e32 v2, 0
	v_cndmask_b32_e32 v1, v1, v3, vcc
	v_mov_b32_e32 v3, s20
	v_cndmask_b32_e32 v0, v0, v3, vcc
	global_store_dwordx2 v2, v[0:1], s[0:1]
	s_endpgm
	.section	.rodata,"a",@progbits
	.p2align	6, 0x0
	.amdhsa_kernel _ZN7rocprim6detail19block_reduce_kernelILb1ELb1ELj2ENS0_21wrapped_reduce_configINS_14default_configEdEEdN6thrust11hip_rocprim26transform_input_iterator_tIdNS5_6detail15normal_iteratorINS5_10device_ptrIdEEEEZ4mainEUldE_EEPddNS5_4plusIdEEEEvT4_mT5_T6_T7_
		.amdhsa_group_segment_fixed_size 32
		.amdhsa_private_segment_fixed_size 0
		.amdhsa_kernarg_size 44
		.amdhsa_user_sgpr_count 6
		.amdhsa_user_sgpr_private_segment_buffer 1
		.amdhsa_user_sgpr_dispatch_ptr 0
		.amdhsa_user_sgpr_queue_ptr 0
		.amdhsa_user_sgpr_kernarg_segment_ptr 1
		.amdhsa_user_sgpr_dispatch_id 0
		.amdhsa_user_sgpr_flat_scratch_init 0
		.amdhsa_user_sgpr_private_segment_size 0
		.amdhsa_uses_dynamic_stack 0
		.amdhsa_system_sgpr_private_segment_wavefront_offset 0
		.amdhsa_system_sgpr_workgroup_id_x 1
		.amdhsa_system_sgpr_workgroup_id_y 0
		.amdhsa_system_sgpr_workgroup_id_z 0
		.amdhsa_system_sgpr_workgroup_info 0
		.amdhsa_system_vgpr_workitem_id 0
		.amdhsa_next_free_vgpr 22
		.amdhsa_next_free_sgpr 25
		.amdhsa_reserve_vcc 1
		.amdhsa_reserve_flat_scratch 0
		.amdhsa_float_round_mode_32 0
		.amdhsa_float_round_mode_16_64 0
		.amdhsa_float_denorm_mode_32 3
		.amdhsa_float_denorm_mode_16_64 3
		.amdhsa_dx10_clamp 1
		.amdhsa_ieee_mode 1
		.amdhsa_fp16_overflow 0
		.amdhsa_exception_fp_ieee_invalid_op 0
		.amdhsa_exception_fp_denorm_src 0
		.amdhsa_exception_fp_ieee_div_zero 0
		.amdhsa_exception_fp_ieee_overflow 0
		.amdhsa_exception_fp_ieee_underflow 0
		.amdhsa_exception_fp_ieee_inexact 0
		.amdhsa_exception_int_div_zero 0
	.end_amdhsa_kernel
	.section	.text._ZN7rocprim6detail19block_reduce_kernelILb1ELb1ELj2ENS0_21wrapped_reduce_configINS_14default_configEdEEdN6thrust11hip_rocprim26transform_input_iterator_tIdNS5_6detail15normal_iteratorINS5_10device_ptrIdEEEEZ4mainEUldE_EEPddNS5_4plusIdEEEEvT4_mT5_T6_T7_,"axG",@progbits,_ZN7rocprim6detail19block_reduce_kernelILb1ELb1ELj2ENS0_21wrapped_reduce_configINS_14default_configEdEEdN6thrust11hip_rocprim26transform_input_iterator_tIdNS5_6detail15normal_iteratorINS5_10device_ptrIdEEEEZ4mainEUldE_EEPddNS5_4plusIdEEEEvT4_mT5_T6_T7_,comdat
.Lfunc_end14:
	.size	_ZN7rocprim6detail19block_reduce_kernelILb1ELb1ELj2ENS0_21wrapped_reduce_configINS_14default_configEdEEdN6thrust11hip_rocprim26transform_input_iterator_tIdNS5_6detail15normal_iteratorINS5_10device_ptrIdEEEEZ4mainEUldE_EEPddNS5_4plusIdEEEEvT4_mT5_T6_T7_, .Lfunc_end14-_ZN7rocprim6detail19block_reduce_kernelILb1ELb1ELj2ENS0_21wrapped_reduce_configINS_14default_configEdEEdN6thrust11hip_rocprim26transform_input_iterator_tIdNS5_6detail15normal_iteratorINS5_10device_ptrIdEEEEZ4mainEUldE_EEPddNS5_4plusIdEEEEvT4_mT5_T6_T7_
                                        ; -- End function
	.section	.AMDGPU.csdata,"",@progbits
; Kernel info:
; codeLenInByte = 1864
; NumSgprs: 29
; NumVgprs: 22
; ScratchSize: 0
; MemoryBound: 0
; FloatMode: 240
; IeeeMode: 1
; LDSByteSize: 32 bytes/workgroup (compile time only)
; SGPRBlocks: 3
; VGPRBlocks: 5
; NumSGPRsForWavesPerEU: 29
; NumVGPRsForWavesPerEU: 22
; Occupancy: 8
; WaveLimiterHint : 1
; COMPUTE_PGM_RSRC2:SCRATCH_EN: 0
; COMPUTE_PGM_RSRC2:USER_SGPR: 6
; COMPUTE_PGM_RSRC2:TRAP_HANDLER: 0
; COMPUTE_PGM_RSRC2:TGID_X_EN: 1
; COMPUTE_PGM_RSRC2:TGID_Y_EN: 0
; COMPUTE_PGM_RSRC2:TGID_Z_EN: 0
; COMPUTE_PGM_RSRC2:TIDIG_COMP_CNT: 0
	.section	.text._ZN7rocprim6detail19block_reduce_kernelILb1ELb1ELj4ENS0_21wrapped_reduce_configINS_14default_configEdEEdN6thrust11hip_rocprim26transform_input_iterator_tIdNS5_6detail15normal_iteratorINS5_10device_ptrIdEEEEZ4mainEUldE_EEPddNS5_4plusIdEEEEvT4_mT5_T6_T7_,"axG",@progbits,_ZN7rocprim6detail19block_reduce_kernelILb1ELb1ELj4ENS0_21wrapped_reduce_configINS_14default_configEdEEdN6thrust11hip_rocprim26transform_input_iterator_tIdNS5_6detail15normal_iteratorINS5_10device_ptrIdEEEEZ4mainEUldE_EEPddNS5_4plusIdEEEEvT4_mT5_T6_T7_,comdat
	.globl	_ZN7rocprim6detail19block_reduce_kernelILb1ELb1ELj4ENS0_21wrapped_reduce_configINS_14default_configEdEEdN6thrust11hip_rocprim26transform_input_iterator_tIdNS5_6detail15normal_iteratorINS5_10device_ptrIdEEEEZ4mainEUldE_EEPddNS5_4plusIdEEEEvT4_mT5_T6_T7_ ; -- Begin function _ZN7rocprim6detail19block_reduce_kernelILb1ELb1ELj4ENS0_21wrapped_reduce_configINS_14default_configEdEEdN6thrust11hip_rocprim26transform_input_iterator_tIdNS5_6detail15normal_iteratorINS5_10device_ptrIdEEEEZ4mainEUldE_EEPddNS5_4plusIdEEEEvT4_mT5_T6_T7_
	.p2align	8
	.type	_ZN7rocprim6detail19block_reduce_kernelILb1ELb1ELj4ENS0_21wrapped_reduce_configINS_14default_configEdEEdN6thrust11hip_rocprim26transform_input_iterator_tIdNS5_6detail15normal_iteratorINS5_10device_ptrIdEEEEZ4mainEUldE_EEPddNS5_4plusIdEEEEvT4_mT5_T6_T7_,@function
_ZN7rocprim6detail19block_reduce_kernelILb1ELb1ELj4ENS0_21wrapped_reduce_configINS_14default_configEdEEdN6thrust11hip_rocprim26transform_input_iterator_tIdNS5_6detail15normal_iteratorINS5_10device_ptrIdEEEEZ4mainEUldE_EEPddNS5_4plusIdEEEEvT4_mT5_T6_T7_: ; @_ZN7rocprim6detail19block_reduce_kernelILb1ELb1ELj4ENS0_21wrapped_reduce_configINS_14default_configEdEEdN6thrust11hip_rocprim26transform_input_iterator_tIdNS5_6detail15normal_iteratorINS5_10device_ptrIdEEEEZ4mainEUldE_EEPddNS5_4plusIdEEEEvT4_mT5_T6_T7_
; %bb.0:
	s_load_dwordx2 s[2:3], s[4:5], 0x0
	s_load_dwordx4 s[36:39], s[4:5], 0x10
	s_load_dwordx2 s[34:35], s[4:5], 0x20
	s_lshl_b32 s0, s6, 11
	s_mov_b32 s1, 0
	s_lshl_b64 s[8:9], s[0:1], 3
	s_waitcnt lgkmcnt(0)
	s_lshr_b64 s[4:5], s[36:37], 11
	s_mov_b32 s7, s1
	s_add_u32 s1, s2, s8
	s_addc_u32 s2, s3, s9
	v_lshlrev_b32_e32 v1, 3, v0
	v_mov_b32_e32 v2, s2
	v_add_co_u32_e32 v1, vcc, s1, v1
	s_cmp_lg_u64 s[4:5], s[6:7]
	v_addc_co_u32_e32 v2, vcc, 0, v2, vcc
	v_mbcnt_lo_u32_b32 v35, -1, 0
	s_cbranch_scc0 .LBB15_6
; %bb.1:
	global_load_dwordx2 v[3:4], v[1:2], off
	global_load_dwordx2 v[5:6], v[1:2], off offset:1024
	global_load_dwordx2 v[7:8], v[1:2], off offset:2048
	;; [unrolled: 1-line block ×3, first 2 shown]
	v_add_co_u32_e32 v11, vcc, 0x1000, v1
	v_addc_co_u32_e32 v12, vcc, 0, v2, vcc
	global_load_dwordx2 v[13:14], v[11:12], off
	global_load_dwordx2 v[15:16], v[11:12], off offset:1024
	global_load_dwordx2 v[17:18], v[11:12], off offset:2048
	global_load_dwordx2 v[19:20], v[11:12], off offset:3072
	v_add_co_u32_e32 v11, vcc, 0x2000, v1
	v_addc_co_u32_e32 v12, vcc, 0, v2, vcc
	global_load_dwordx2 v[21:22], v[11:12], off
	global_load_dwordx2 v[23:24], v[11:12], off offset:1024
	global_load_dwordx2 v[25:26], v[11:12], off offset:2048
	s_waitcnt vmcnt(9)
	v_add_f64 v[3:4], |v[3:4]|, |v[5:6]|
	global_load_dwordx2 v[5:6], v[11:12], off offset:3072
	v_add_co_u32_e32 v11, vcc, 0x3000, v1
	v_addc_co_u32_e32 v12, vcc, 0, v2, vcc
	s_waitcnt vmcnt(9)
	v_add_f64 v[3:4], v[3:4], |v[7:8]|
	global_load_dwordx2 v[7:8], v[11:12], off
	s_waitcnt vmcnt(9)
	v_add_f64 v[3:4], v[3:4], |v[9:10]|
	global_load_dwordx2 v[9:10], v[11:12], off offset:1024
	s_waitcnt vmcnt(9)
	v_add_f64 v[3:4], v[3:4], |v[13:14]|
	global_load_dwordx2 v[13:14], v[11:12], off offset:2048
	global_load_dwordx2 v[27:28], v[11:12], off offset:3072
	s_waitcnt vmcnt(10)
	v_add_f64 v[3:4], v[3:4], |v[15:16]|
	s_waitcnt vmcnt(9)
	v_add_f64 v[3:4], v[3:4], |v[17:18]|
	;; [unrolled: 2-line block ×11, first 2 shown]
	s_nop 1
	v_mov_b32_dpp v5, v3 quad_perm:[1,0,3,2] row_mask:0xf bank_mask:0xf
	v_mov_b32_dpp v6, v4 quad_perm:[1,0,3,2] row_mask:0xf bank_mask:0xf
	v_add_f64 v[3:4], v[3:4], v[5:6]
	s_nop 1
	v_mov_b32_dpp v5, v3 quad_perm:[2,3,0,1] row_mask:0xf bank_mask:0xf
	v_mov_b32_dpp v6, v4 quad_perm:[2,3,0,1] row_mask:0xf bank_mask:0xf
	v_add_f64 v[3:4], v[3:4], v[5:6]
	s_nop 1
	v_mov_b32_dpp v5, v3 row_ror:4 row_mask:0xf bank_mask:0xf
	v_mov_b32_dpp v6, v4 row_ror:4 row_mask:0xf bank_mask:0xf
	v_add_f64 v[3:4], v[3:4], v[5:6]
	s_nop 1
	v_mov_b32_dpp v5, v3 row_ror:8 row_mask:0xf bank_mask:0xf
	v_mov_b32_dpp v6, v4 row_ror:8 row_mask:0xf bank_mask:0xf
	v_add_f64 v[3:4], v[3:4], v[5:6]
	s_nop 1
	v_mov_b32_dpp v5, v3 row_bcast:15 row_mask:0xf bank_mask:0xf
	v_mov_b32_dpp v6, v4 row_bcast:15 row_mask:0xf bank_mask:0xf
	v_add_f64 v[3:4], v[3:4], v[5:6]
	s_nop 1
	v_mov_b32_dpp v5, v3 row_bcast:31 row_mask:0xf bank_mask:0xf
	v_mov_b32_dpp v6, v4 row_bcast:31 row_mask:0xf bank_mask:0xf
	v_add_f64 v[3:4], v[3:4], v[5:6]
	v_mbcnt_hi_u32_b32 v6, -1, v35
	v_lshlrev_b32_e32 v5, 2, v6
	v_or_b32_e32 v7, 0xfc, v5
	v_cmp_eq_u32_e32 vcc, 0, v6
	ds_bpermute_b32 v3, v7, v3
	ds_bpermute_b32 v4, v7, v4
	s_and_saveexec_b64 s[2:3], vcc
	s_cbranch_execz .LBB15_3
; %bb.2:
	v_lshrrev_b32_e32 v7, 3, v0
	v_and_b32_e32 v7, 8, v7
	s_waitcnt lgkmcnt(0)
	ds_write_b64 v7, v[3:4]
.LBB15_3:
	s_or_b64 exec, exec, s[2:3]
	v_cmp_gt_u32_e32 vcc, 64, v0
	s_waitcnt lgkmcnt(0)
	s_barrier
	s_and_saveexec_b64 s[2:3], vcc
	s_cbranch_execz .LBB15_5
; %bb.4:
	v_and_b32_e32 v3, 1, v6
	v_lshlrev_b32_e32 v3, 3, v3
	ds_read_b64 v[3:4], v3
	v_or_b32_e32 v6, 4, v5
	s_waitcnt lgkmcnt(0)
	ds_bpermute_b32 v5, v6, v3
	ds_bpermute_b32 v6, v6, v4
	s_waitcnt lgkmcnt(0)
	v_add_f64 v[3:4], v[3:4], v[5:6]
.LBB15_5:
	s_or_b64 exec, exec, s[2:3]
	s_branch .LBB15_54
.LBB15_6:
                                        ; implicit-def: $vgpr3_vgpr4
	s_cbranch_execz .LBB15_54
; %bb.7:
	s_sub_i32 s33, s36, s0
	v_cmp_gt_u32_e32 vcc, s33, v0
                                        ; implicit-def: $vgpr3_vgpr4
	s_and_saveexec_b64 s[0:1], vcc
	s_cbranch_execz .LBB15_9
; %bb.8:
	global_load_dwordx2 v[3:4], v[1:2], off
	s_waitcnt vmcnt(0)
	v_and_b32_e32 v4, 0x7fffffff, v4
.LBB15_9:
	s_or_b64 exec, exec, s[0:1]
	v_or_b32_e32 v5, 0x80, v0
	v_cmp_gt_u32_e64 s[0:1], s33, v5
                                        ; implicit-def: $vgpr5_vgpr6
	s_and_saveexec_b64 s[2:3], s[0:1]
	s_cbranch_execz .LBB15_11
; %bb.10:
	global_load_dwordx2 v[5:6], v[1:2], off offset:1024
	s_waitcnt vmcnt(0)
	v_and_b32_e32 v6, 0x7fffffff, v6
.LBB15_11:
	s_or_b64 exec, exec, s[2:3]
	v_or_b32_e32 v7, 0x100, v0
	v_cmp_gt_u32_e64 s[2:3], s33, v7
                                        ; implicit-def: $vgpr7_vgpr8
	s_and_saveexec_b64 s[4:5], s[2:3]
	s_cbranch_execz .LBB15_13
; %bb.12:
	global_load_dwordx2 v[7:8], v[1:2], off offset:2048
	s_waitcnt vmcnt(0)
	v_and_b32_e32 v8, 0x7fffffff, v8
.LBB15_13:
	s_or_b64 exec, exec, s[4:5]
	v_or_b32_e32 v9, 0x180, v0
	v_cmp_gt_u32_e64 s[4:5], s33, v9
                                        ; implicit-def: $vgpr9_vgpr10
	s_and_saveexec_b64 s[8:9], s[4:5]
	s_cbranch_execz .LBB15_15
; %bb.14:
	global_load_dwordx2 v[9:10], v[1:2], off offset:3072
	s_waitcnt vmcnt(0)
	v_and_b32_e32 v10, 0x7fffffff, v10
.LBB15_15:
	s_or_b64 exec, exec, s[8:9]
	v_or_b32_e32 v11, 0x200, v0
	v_cmp_gt_u32_e64 s[8:9], s33, v11
                                        ; implicit-def: $vgpr11_vgpr12
	s_and_saveexec_b64 s[10:11], s[8:9]
	s_cbranch_execz .LBB15_17
; %bb.16:
	v_add_co_u32_e32 v11, vcc, 0x1000, v1
	v_addc_co_u32_e32 v12, vcc, 0, v2, vcc
	global_load_dwordx2 v[11:12], v[11:12], off
	s_waitcnt vmcnt(0)
	v_and_b32_e32 v12, 0x7fffffff, v12
.LBB15_17:
	s_or_b64 exec, exec, s[10:11]
	v_or_b32_e32 v13, 0x280, v0
	v_cmp_gt_u32_e64 s[10:11], s33, v13
                                        ; implicit-def: $vgpr13_vgpr14
	s_and_saveexec_b64 s[12:13], s[10:11]
	s_cbranch_execz .LBB15_19
; %bb.18:
	v_add_co_u32_e32 v13, vcc, 0x1000, v1
	v_addc_co_u32_e32 v14, vcc, 0, v2, vcc
	global_load_dwordx2 v[13:14], v[13:14], off offset:1024
	s_waitcnt vmcnt(0)
	v_and_b32_e32 v14, 0x7fffffff, v14
.LBB15_19:
	s_or_b64 exec, exec, s[12:13]
	v_or_b32_e32 v15, 0x300, v0
	v_cmp_gt_u32_e64 s[12:13], s33, v15
                                        ; implicit-def: $vgpr15_vgpr16
	s_and_saveexec_b64 s[14:15], s[12:13]
	s_cbranch_execz .LBB15_21
; %bb.20:
	v_add_co_u32_e32 v15, vcc, 0x1000, v1
	v_addc_co_u32_e32 v16, vcc, 0, v2, vcc
	global_load_dwordx2 v[15:16], v[15:16], off offset:2048
	s_waitcnt vmcnt(0)
	v_and_b32_e32 v16, 0x7fffffff, v16
.LBB15_21:
	s_or_b64 exec, exec, s[14:15]
	v_or_b32_e32 v17, 0x380, v0
	v_cmp_gt_u32_e64 s[14:15], s33, v17
                                        ; implicit-def: $vgpr17_vgpr18
	s_and_saveexec_b64 s[16:17], s[14:15]
	s_cbranch_execz .LBB15_23
; %bb.22:
	v_add_co_u32_e32 v17, vcc, 0x1000, v1
	v_addc_co_u32_e32 v18, vcc, 0, v2, vcc
	global_load_dwordx2 v[17:18], v[17:18], off offset:3072
	s_waitcnt vmcnt(0)
	v_and_b32_e32 v18, 0x7fffffff, v18
.LBB15_23:
	s_or_b64 exec, exec, s[16:17]
	v_or_b32_e32 v19, 0x400, v0
	v_cmp_gt_u32_e64 s[16:17], s33, v19
                                        ; implicit-def: $vgpr19_vgpr20
	s_and_saveexec_b64 s[18:19], s[16:17]
	s_cbranch_execz .LBB15_25
; %bb.24:
	v_add_co_u32_e32 v19, vcc, 0x2000, v1
	v_addc_co_u32_e32 v20, vcc, 0, v2, vcc
	global_load_dwordx2 v[19:20], v[19:20], off
	s_waitcnt vmcnt(0)
	v_and_b32_e32 v20, 0x7fffffff, v20
.LBB15_25:
	s_or_b64 exec, exec, s[18:19]
	v_or_b32_e32 v21, 0x480, v0
	v_cmp_gt_u32_e64 s[18:19], s33, v21
                                        ; implicit-def: $vgpr21_vgpr22
	s_and_saveexec_b64 s[20:21], s[18:19]
	s_cbranch_execz .LBB15_27
; %bb.26:
	v_add_co_u32_e32 v21, vcc, 0x2000, v1
	v_addc_co_u32_e32 v22, vcc, 0, v2, vcc
	global_load_dwordx2 v[21:22], v[21:22], off offset:1024
	s_waitcnt vmcnt(0)
	v_and_b32_e32 v22, 0x7fffffff, v22
.LBB15_27:
	s_or_b64 exec, exec, s[20:21]
	v_or_b32_e32 v23, 0x500, v0
	v_cmp_gt_u32_e64 s[20:21], s33, v23
                                        ; implicit-def: $vgpr23_vgpr24
	s_and_saveexec_b64 s[22:23], s[20:21]
	s_cbranch_execz .LBB15_29
; %bb.28:
	v_add_co_u32_e32 v23, vcc, 0x2000, v1
	v_addc_co_u32_e32 v24, vcc, 0, v2, vcc
	global_load_dwordx2 v[23:24], v[23:24], off offset:2048
	s_waitcnt vmcnt(0)
	v_and_b32_e32 v24, 0x7fffffff, v24
.LBB15_29:
	s_or_b64 exec, exec, s[22:23]
	v_or_b32_e32 v25, 0x580, v0
	v_cmp_gt_u32_e64 s[22:23], s33, v25
                                        ; implicit-def: $vgpr25_vgpr26
	s_and_saveexec_b64 s[24:25], s[22:23]
	s_cbranch_execz .LBB15_31
; %bb.30:
	v_add_co_u32_e32 v25, vcc, 0x2000, v1
	v_addc_co_u32_e32 v26, vcc, 0, v2, vcc
	global_load_dwordx2 v[25:26], v[25:26], off offset:3072
	s_waitcnt vmcnt(0)
	v_and_b32_e32 v26, 0x7fffffff, v26
.LBB15_31:
	s_or_b64 exec, exec, s[24:25]
	v_or_b32_e32 v27, 0x600, v0
	v_cmp_gt_u32_e64 s[24:25], s33, v27
                                        ; implicit-def: $vgpr27_vgpr28
	s_and_saveexec_b64 s[26:27], s[24:25]
	s_cbranch_execz .LBB15_33
; %bb.32:
	v_add_co_u32_e32 v27, vcc, 0x3000, v1
	v_addc_co_u32_e32 v28, vcc, 0, v2, vcc
	global_load_dwordx2 v[27:28], v[27:28], off
	s_waitcnt vmcnt(0)
	v_and_b32_e32 v28, 0x7fffffff, v28
.LBB15_33:
	s_or_b64 exec, exec, s[26:27]
	v_or_b32_e32 v29, 0x680, v0
	v_cmp_gt_u32_e64 s[26:27], s33, v29
                                        ; implicit-def: $vgpr29_vgpr30
	s_and_saveexec_b64 s[28:29], s[26:27]
	s_cbranch_execz .LBB15_35
; %bb.34:
	v_add_co_u32_e32 v29, vcc, 0x3000, v1
	v_addc_co_u32_e32 v30, vcc, 0, v2, vcc
	global_load_dwordx2 v[29:30], v[29:30], off offset:1024
	s_waitcnt vmcnt(0)
	v_and_b32_e32 v30, 0x7fffffff, v30
.LBB15_35:
	s_or_b64 exec, exec, s[28:29]
	v_or_b32_e32 v31, 0x700, v0
	v_cmp_gt_u32_e64 s[28:29], s33, v31
                                        ; implicit-def: $vgpr31_vgpr32
	s_and_saveexec_b64 s[30:31], s[28:29]
	s_cbranch_execz .LBB15_37
; %bb.36:
	v_add_co_u32_e32 v31, vcc, 0x3000, v1
	v_addc_co_u32_e32 v32, vcc, 0, v2, vcc
	global_load_dwordx2 v[31:32], v[31:32], off offset:2048
	s_waitcnt vmcnt(0)
	v_and_b32_e32 v32, 0x7fffffff, v32
.LBB15_37:
	s_or_b64 exec, exec, s[30:31]
	v_or_b32_e32 v33, 0x780, v0
	v_cmp_gt_u32_e64 s[30:31], s33, v33
                                        ; implicit-def: $vgpr33_vgpr34
	s_and_saveexec_b64 s[40:41], s[30:31]
	s_cbranch_execz .LBB15_39
; %bb.38:
	v_add_co_u32_e32 v1, vcc, 0x3000, v1
	v_addc_co_u32_e32 v2, vcc, 0, v2, vcc
	global_load_dwordx2 v[33:34], v[1:2], off offset:3072
	s_waitcnt vmcnt(0)
	v_and_b32_e32 v34, 0x7fffffff, v34
.LBB15_39:
	s_or_b64 exec, exec, s[40:41]
	v_add_f64 v[1:2], v[3:4], v[5:6]
	v_mbcnt_hi_u32_b32 v5, -1, v35
	v_cndmask_b32_e64 v2, v4, v2, s[0:1]
	v_cndmask_b32_e64 v1, v3, v1, s[0:1]
	v_add_f64 v[3:4], v[1:2], v[7:8]
	v_and_b32_e32 v7, 63, v5
	v_cmp_ne_u32_e32 vcc, 63, v7
	v_addc_co_u32_e32 v6, vcc, 0, v5, vcc
	v_lshlrev_b32_e32 v6, 2, v6
	v_add_u32_e32 v8, 1, v5
	v_cndmask_b32_e64 v2, v2, v4, s[2:3]
	v_cndmask_b32_e64 v1, v1, v3, s[2:3]
	v_add_f64 v[3:4], v[1:2], v[9:10]
	s_min_u32 s2, s33, 0x80
	v_cndmask_b32_e64 v2, v2, v4, s[4:5]
	v_cndmask_b32_e64 v1, v1, v3, s[4:5]
	v_add_f64 v[3:4], v[1:2], v[11:12]
	v_cndmask_b32_e64 v2, v2, v4, s[8:9]
	v_cndmask_b32_e64 v1, v1, v3, s[8:9]
	v_add_f64 v[3:4], v[1:2], v[13:14]
	;; [unrolled: 3-line block ×12, first 2 shown]
	v_cndmask_b32_e64 v2, v2, v4, s[30:31]
	v_cndmask_b32_e64 v1, v1, v3, s[30:31]
	ds_bpermute_b32 v3, v6, v1
	ds_bpermute_b32 v4, v6, v2
	v_and_b32_e32 v6, 64, v0
	v_sub_u32_e64 v6, s2, v6 clamp
	v_cmp_lt_u32_e32 vcc, v8, v6
	s_and_saveexec_b64 s[0:1], vcc
	s_cbranch_execz .LBB15_41
; %bb.40:
	s_waitcnt lgkmcnt(0)
	v_add_f64 v[1:2], v[1:2], v[3:4]
.LBB15_41:
	s_or_b64 exec, exec, s[0:1]
	v_cmp_gt_u32_e32 vcc, 62, v7
	s_waitcnt lgkmcnt(1)
	v_cndmask_b32_e64 v3, 0, 1, vcc
	v_lshlrev_b32_e32 v3, 1, v3
	s_waitcnt lgkmcnt(0)
	v_add_lshl_u32 v4, v3, v5, 2
	ds_bpermute_b32 v3, v4, v1
	ds_bpermute_b32 v4, v4, v2
	v_add_u32_e32 v8, 2, v5
	v_cmp_lt_u32_e32 vcc, v8, v6
	s_and_saveexec_b64 s[0:1], vcc
	s_cbranch_execz .LBB15_43
; %bb.42:
	s_waitcnt lgkmcnt(0)
	v_add_f64 v[1:2], v[1:2], v[3:4]
.LBB15_43:
	s_or_b64 exec, exec, s[0:1]
	v_cmp_gt_u32_e32 vcc, 60, v7
	s_waitcnt lgkmcnt(1)
	v_cndmask_b32_e64 v3, 0, 1, vcc
	v_lshlrev_b32_e32 v3, 2, v3
	s_waitcnt lgkmcnt(0)
	v_add_lshl_u32 v4, v3, v5, 2
	ds_bpermute_b32 v3, v4, v1
	ds_bpermute_b32 v4, v4, v2
	v_add_u32_e32 v8, 4, v5
	;; [unrolled: 17-line block ×5, first 2 shown]
	v_cmp_lt_u32_e32 vcc, v7, v6
	s_waitcnt lgkmcnt(0)
	v_add_f64 v[3:4], v[1:2], v[3:4]
	v_cndmask_b32_e32 v4, v2, v4, vcc
	v_cndmask_b32_e32 v3, v1, v3, vcc
	v_cmp_eq_u32_e32 vcc, 0, v5
	s_and_saveexec_b64 s[0:1], vcc
	s_cbranch_execz .LBB15_51
; %bb.50:
	v_lshrrev_b32_e32 v1, 3, v0
	v_and_b32_e32 v1, 8, v1
	ds_write_b64 v1, v[3:4] offset:16
.LBB15_51:
	s_or_b64 exec, exec, s[0:1]
	v_cmp_gt_u32_e32 vcc, 2, v0
	s_waitcnt lgkmcnt(0)
	s_barrier
	s_and_saveexec_b64 s[0:1], vcc
	s_cbranch_execz .LBB15_53
; %bb.52:
	v_lshlrev_b32_e32 v1, 3, v5
	ds_read_b64 v[1:2], v1 offset:16
	v_lshl_or_b32 v4, v5, 2, 4
	s_add_i32 s2, s2, 63
	v_and_b32_e32 v5, 1, v5
	s_lshr_b32 s2, s2, 6
	s_waitcnt lgkmcnt(0)
	ds_bpermute_b32 v3, v4, v1
	ds_bpermute_b32 v4, v4, v2
	v_add_u32_e32 v5, 1, v5
	v_cmp_gt_u32_e32 vcc, s2, v5
	s_waitcnt lgkmcnt(0)
	v_add_f64 v[3:4], v[1:2], v[3:4]
	v_cndmask_b32_e32 v4, v2, v4, vcc
	v_cndmask_b32_e32 v3, v1, v3, vcc
.LBB15_53:
	s_or_b64 exec, exec, s[0:1]
.LBB15_54:
	v_cmp_eq_u32_e32 vcc, 0, v0
	s_and_saveexec_b64 s[0:1], vcc
	s_cbranch_execnz .LBB15_56
; %bb.55:
	s_endpgm
.LBB15_56:
	v_add_f64 v[0:1], v[3:4], s[34:35]
	s_lshl_b64 s[0:1], s[6:7], 3
	s_add_u32 s0, s38, s0
	s_addc_u32 s1, s39, s1
	s_cmp_eq_u64 s[36:37], 0
	v_mov_b32_e32 v3, s35
	s_cselect_b64 vcc, -1, 0
	v_mov_b32_e32 v2, 0
	v_cndmask_b32_e32 v1, v1, v3, vcc
	v_mov_b32_e32 v3, s34
	v_cndmask_b32_e32 v0, v0, v3, vcc
	global_store_dwordx2 v2, v[0:1], s[0:1]
	s_endpgm
	.section	.rodata,"a",@progbits
	.p2align	6, 0x0
	.amdhsa_kernel _ZN7rocprim6detail19block_reduce_kernelILb1ELb1ELj4ENS0_21wrapped_reduce_configINS_14default_configEdEEdN6thrust11hip_rocprim26transform_input_iterator_tIdNS5_6detail15normal_iteratorINS5_10device_ptrIdEEEEZ4mainEUldE_EEPddNS5_4plusIdEEEEvT4_mT5_T6_T7_
		.amdhsa_group_segment_fixed_size 32
		.amdhsa_private_segment_fixed_size 0
		.amdhsa_kernarg_size 44
		.amdhsa_user_sgpr_count 6
		.amdhsa_user_sgpr_private_segment_buffer 1
		.amdhsa_user_sgpr_dispatch_ptr 0
		.amdhsa_user_sgpr_queue_ptr 0
		.amdhsa_user_sgpr_kernarg_segment_ptr 1
		.amdhsa_user_sgpr_dispatch_id 0
		.amdhsa_user_sgpr_flat_scratch_init 0
		.amdhsa_user_sgpr_private_segment_size 0
		.amdhsa_uses_dynamic_stack 0
		.amdhsa_system_sgpr_private_segment_wavefront_offset 0
		.amdhsa_system_sgpr_workgroup_id_x 1
		.amdhsa_system_sgpr_workgroup_id_y 0
		.amdhsa_system_sgpr_workgroup_id_z 0
		.amdhsa_system_sgpr_workgroup_info 0
		.amdhsa_system_vgpr_workitem_id 0
		.amdhsa_next_free_vgpr 36
		.amdhsa_next_free_sgpr 42
		.amdhsa_reserve_vcc 1
		.amdhsa_reserve_flat_scratch 0
		.amdhsa_float_round_mode_32 0
		.amdhsa_float_round_mode_16_64 0
		.amdhsa_float_denorm_mode_32 3
		.amdhsa_float_denorm_mode_16_64 3
		.amdhsa_dx10_clamp 1
		.amdhsa_ieee_mode 1
		.amdhsa_fp16_overflow 0
		.amdhsa_exception_fp_ieee_invalid_op 0
		.amdhsa_exception_fp_denorm_src 0
		.amdhsa_exception_fp_ieee_div_zero 0
		.amdhsa_exception_fp_ieee_overflow 0
		.amdhsa_exception_fp_ieee_underflow 0
		.amdhsa_exception_fp_ieee_inexact 0
		.amdhsa_exception_int_div_zero 0
	.end_amdhsa_kernel
	.section	.text._ZN7rocprim6detail19block_reduce_kernelILb1ELb1ELj4ENS0_21wrapped_reduce_configINS_14default_configEdEEdN6thrust11hip_rocprim26transform_input_iterator_tIdNS5_6detail15normal_iteratorINS5_10device_ptrIdEEEEZ4mainEUldE_EEPddNS5_4plusIdEEEEvT4_mT5_T6_T7_,"axG",@progbits,_ZN7rocprim6detail19block_reduce_kernelILb1ELb1ELj4ENS0_21wrapped_reduce_configINS_14default_configEdEEdN6thrust11hip_rocprim26transform_input_iterator_tIdNS5_6detail15normal_iteratorINS5_10device_ptrIdEEEEZ4mainEUldE_EEPddNS5_4plusIdEEEEvT4_mT5_T6_T7_,comdat
.Lfunc_end15:
	.size	_ZN7rocprim6detail19block_reduce_kernelILb1ELb1ELj4ENS0_21wrapped_reduce_configINS_14default_configEdEEdN6thrust11hip_rocprim26transform_input_iterator_tIdNS5_6detail15normal_iteratorINS5_10device_ptrIdEEEEZ4mainEUldE_EEPddNS5_4plusIdEEEEvT4_mT5_T6_T7_, .Lfunc_end15-_ZN7rocprim6detail19block_reduce_kernelILb1ELb1ELj4ENS0_21wrapped_reduce_configINS_14default_configEdEEdN6thrust11hip_rocprim26transform_input_iterator_tIdNS5_6detail15normal_iteratorINS5_10device_ptrIdEEEEZ4mainEUldE_EEPddNS5_4plusIdEEEEvT4_mT5_T6_T7_
                                        ; -- End function
	.section	.AMDGPU.csdata,"",@progbits
; Kernel info:
; codeLenInByte = 2720
; NumSgprs: 46
; NumVgprs: 36
; ScratchSize: 0
; MemoryBound: 1
; FloatMode: 240
; IeeeMode: 1
; LDSByteSize: 32 bytes/workgroup (compile time only)
; SGPRBlocks: 5
; VGPRBlocks: 8
; NumSGPRsForWavesPerEU: 46
; NumVGPRsForWavesPerEU: 36
; Occupancy: 7
; WaveLimiterHint : 1
; COMPUTE_PGM_RSRC2:SCRATCH_EN: 0
; COMPUTE_PGM_RSRC2:USER_SGPR: 6
; COMPUTE_PGM_RSRC2:TRAP_HANDLER: 0
; COMPUTE_PGM_RSRC2:TGID_X_EN: 1
; COMPUTE_PGM_RSRC2:TGID_Y_EN: 0
; COMPUTE_PGM_RSRC2:TGID_Z_EN: 0
; COMPUTE_PGM_RSRC2:TIDIG_COMP_CNT: 0
	.section	.text._ZN7rocprim6detail19block_reduce_kernelILb1ELb1ELj8ENS0_21wrapped_reduce_configINS_14default_configEdEEdN6thrust11hip_rocprim26transform_input_iterator_tIdNS5_6detail15normal_iteratorINS5_10device_ptrIdEEEEZ4mainEUldE_EEPddNS5_4plusIdEEEEvT4_mT5_T6_T7_,"axG",@progbits,_ZN7rocprim6detail19block_reduce_kernelILb1ELb1ELj8ENS0_21wrapped_reduce_configINS_14default_configEdEEdN6thrust11hip_rocprim26transform_input_iterator_tIdNS5_6detail15normal_iteratorINS5_10device_ptrIdEEEEZ4mainEUldE_EEPddNS5_4plusIdEEEEvT4_mT5_T6_T7_,comdat
	.globl	_ZN7rocprim6detail19block_reduce_kernelILb1ELb1ELj8ENS0_21wrapped_reduce_configINS_14default_configEdEEdN6thrust11hip_rocprim26transform_input_iterator_tIdNS5_6detail15normal_iteratorINS5_10device_ptrIdEEEEZ4mainEUldE_EEPddNS5_4plusIdEEEEvT4_mT5_T6_T7_ ; -- Begin function _ZN7rocprim6detail19block_reduce_kernelILb1ELb1ELj8ENS0_21wrapped_reduce_configINS_14default_configEdEEdN6thrust11hip_rocprim26transform_input_iterator_tIdNS5_6detail15normal_iteratorINS5_10device_ptrIdEEEEZ4mainEUldE_EEPddNS5_4plusIdEEEEvT4_mT5_T6_T7_
	.p2align	8
	.type	_ZN7rocprim6detail19block_reduce_kernelILb1ELb1ELj8ENS0_21wrapped_reduce_configINS_14default_configEdEEdN6thrust11hip_rocprim26transform_input_iterator_tIdNS5_6detail15normal_iteratorINS5_10device_ptrIdEEEEZ4mainEUldE_EEPddNS5_4plusIdEEEEvT4_mT5_T6_T7_,@function
_ZN7rocprim6detail19block_reduce_kernelILb1ELb1ELj8ENS0_21wrapped_reduce_configINS_14default_configEdEEdN6thrust11hip_rocprim26transform_input_iterator_tIdNS5_6detail15normal_iteratorINS5_10device_ptrIdEEEEZ4mainEUldE_EEPddNS5_4plusIdEEEEvT4_mT5_T6_T7_: ; @_ZN7rocprim6detail19block_reduce_kernelILb1ELb1ELj8ENS0_21wrapped_reduce_configINS_14default_configEdEEdN6thrust11hip_rocprim26transform_input_iterator_tIdNS5_6detail15normal_iteratorINS5_10device_ptrIdEEEEZ4mainEUldE_EEPddNS5_4plusIdEEEEvT4_mT5_T6_T7_
; %bb.0:
	s_load_dwordx2 s[2:3], s[4:5], 0x0
	s_load_dwordx4 s[68:71], s[4:5], 0x10
	s_load_dwordx2 s[66:67], s[4:5], 0x20
	s_lshl_b32 s0, s6, 12
	s_mov_b32 s1, 0
	s_lshl_b64 s[8:9], s[0:1], 3
	s_waitcnt lgkmcnt(0)
	s_lshr_b64 s[4:5], s[68:69], 12
	s_mov_b32 s7, s1
	s_add_u32 s1, s2, s8
	s_addc_u32 s2, s3, s9
	v_lshlrev_b32_e32 v1, 3, v0
	v_mov_b32_e32 v2, s2
	v_add_co_u32_e32 v1, vcc, s1, v1
	s_cmp_lg_u64 s[4:5], s[6:7]
	v_addc_co_u32_e32 v2, vcc, 0, v2, vcc
	v_mbcnt_lo_u32_b32 v67, -1, 0
	s_cbranch_scc0 .LBB16_6
; %bb.1:
	global_load_dwordx2 v[3:4], v[1:2], off
	global_load_dwordx2 v[5:6], v[1:2], off offset:1024
	global_load_dwordx2 v[7:8], v[1:2], off offset:2048
	;; [unrolled: 1-line block ×3, first 2 shown]
	v_add_co_u32_e32 v11, vcc, 0x1000, v1
	v_addc_co_u32_e32 v12, vcc, 0, v2, vcc
	global_load_dwordx2 v[13:14], v[11:12], off
	global_load_dwordx2 v[15:16], v[11:12], off offset:1024
	global_load_dwordx2 v[17:18], v[11:12], off offset:2048
	;; [unrolled: 1-line block ×3, first 2 shown]
	v_add_co_u32_e32 v11, vcc, 0x2000, v1
	v_addc_co_u32_e32 v12, vcc, 0, v2, vcc
	global_load_dwordx2 v[21:22], v[11:12], off
	global_load_dwordx2 v[23:24], v[11:12], off offset:1024
	global_load_dwordx2 v[25:26], v[11:12], off offset:2048
	s_waitcnt vmcnt(9)
	v_add_f64 v[3:4], |v[3:4]|, |v[5:6]|
	global_load_dwordx2 v[5:6], v[11:12], off offset:3072
	v_add_co_u32_e32 v11, vcc, 0x3000, v1
	v_addc_co_u32_e32 v12, vcc, 0, v2, vcc
	s_waitcnt vmcnt(9)
	v_add_f64 v[3:4], v[3:4], |v[7:8]|
	global_load_dwordx2 v[7:8], v[11:12], off
	s_waitcnt vmcnt(9)
	v_add_f64 v[3:4], v[3:4], |v[9:10]|
	global_load_dwordx2 v[9:10], v[11:12], off offset:1024
	s_waitcnt vmcnt(9)
	v_add_f64 v[3:4], v[3:4], |v[13:14]|
	global_load_dwordx2 v[13:14], v[11:12], off offset:2048
	s_waitcnt vmcnt(9)
	v_add_f64 v[3:4], v[3:4], |v[15:16]|
	v_add_co_u32_e32 v15, vcc, 0x4000, v1
	v_addc_co_u32_e32 v16, vcc, 0, v2, vcc
	s_waitcnt vmcnt(8)
	v_add_f64 v[3:4], v[3:4], |v[17:18]|
	global_load_dwordx2 v[17:18], v[15:16], off
	s_waitcnt vmcnt(8)
	v_add_f64 v[3:4], v[3:4], |v[19:20]|
	global_load_dwordx2 v[11:12], v[11:12], off offset:3072
	s_waitcnt vmcnt(8)
	v_add_f64 v[3:4], v[3:4], |v[21:22]|
	global_load_dwordx2 v[19:20], v[15:16], off offset:1024
	global_load_dwordx2 v[21:22], v[15:16], off offset:2048
	s_waitcnt vmcnt(9)
	v_add_f64 v[3:4], v[3:4], |v[23:24]|
	v_add_co_u32_e32 v23, vcc, 0x5000, v1
	v_addc_co_u32_e32 v24, vcc, 0, v2, vcc
	s_waitcnt vmcnt(8)
	v_add_f64 v[3:4], v[3:4], |v[25:26]|
	global_load_dwordx2 v[25:26], v[23:24], off
	s_waitcnt vmcnt(8)
	v_add_f64 v[3:4], v[3:4], |v[5:6]|
	global_load_dwordx2 v[15:16], v[15:16], off offset:3072
	s_waitcnt vmcnt(8)
	v_add_f64 v[3:4], v[3:4], |v[7:8]|
	global_load_dwordx2 v[5:6], v[23:24], off offset:1024
	global_load_dwordx2 v[7:8], v[23:24], off offset:2048
	s_waitcnt vmcnt(9)
	v_add_f64 v[3:4], v[3:4], |v[9:10]|
	global_load_dwordx2 v[9:10], v[23:24], off offset:3072
	v_add_co_u32_e32 v23, vcc, 0x6000, v1
	v_addc_co_u32_e32 v24, vcc, 0, v2, vcc
	s_waitcnt vmcnt(9)
	v_add_f64 v[3:4], v[3:4], |v[13:14]|
	global_load_dwordx2 v[13:14], v[23:24], off
	s_waitcnt vmcnt(8)
	v_add_f64 v[3:4], v[3:4], |v[11:12]|
	global_load_dwordx2 v[11:12], v[23:24], off offset:1024
	v_add_f64 v[3:4], v[3:4], |v[17:18]|
	global_load_dwordx2 v[17:18], v[23:24], off offset:2048
	s_waitcnt vmcnt(9)
	v_add_f64 v[3:4], v[3:4], |v[19:20]|
	global_load_dwordx2 v[19:20], v[23:24], off offset:3072
	v_add_co_u32_e32 v23, vcc, 0x7000, v1
	v_addc_co_u32_e32 v24, vcc, 0, v2, vcc
	s_waitcnt vmcnt(9)
	v_add_f64 v[3:4], v[3:4], |v[21:22]|
	global_load_dwordx2 v[21:22], v[23:24], off
	s_waitcnt vmcnt(8)
	v_add_f64 v[3:4], v[3:4], |v[15:16]|
	global_load_dwordx2 v[15:16], v[23:24], off offset:1024
	v_add_f64 v[3:4], v[3:4], |v[25:26]|
	global_load_dwordx2 v[25:26], v[23:24], off offset:2048
	global_load_dwordx2 v[27:28], v[23:24], off offset:3072
	s_waitcnt vmcnt(10)
	v_add_f64 v[3:4], v[3:4], |v[5:6]|
	s_waitcnt vmcnt(9)
	v_add_f64 v[3:4], v[3:4], |v[7:8]|
	;; [unrolled: 2-line block ×11, first 2 shown]
	s_nop 1
	v_mov_b32_dpp v5, v3 quad_perm:[1,0,3,2] row_mask:0xf bank_mask:0xf
	v_mov_b32_dpp v6, v4 quad_perm:[1,0,3,2] row_mask:0xf bank_mask:0xf
	v_add_f64 v[3:4], v[3:4], v[5:6]
	s_nop 1
	v_mov_b32_dpp v5, v3 quad_perm:[2,3,0,1] row_mask:0xf bank_mask:0xf
	v_mov_b32_dpp v6, v4 quad_perm:[2,3,0,1] row_mask:0xf bank_mask:0xf
	v_add_f64 v[3:4], v[3:4], v[5:6]
	s_nop 1
	v_mov_b32_dpp v5, v3 row_ror:4 row_mask:0xf bank_mask:0xf
	v_mov_b32_dpp v6, v4 row_ror:4 row_mask:0xf bank_mask:0xf
	v_add_f64 v[3:4], v[3:4], v[5:6]
	s_nop 1
	v_mov_b32_dpp v5, v3 row_ror:8 row_mask:0xf bank_mask:0xf
	v_mov_b32_dpp v6, v4 row_ror:8 row_mask:0xf bank_mask:0xf
	v_add_f64 v[3:4], v[3:4], v[5:6]
	s_nop 1
	v_mov_b32_dpp v5, v3 row_bcast:15 row_mask:0xf bank_mask:0xf
	v_mov_b32_dpp v6, v4 row_bcast:15 row_mask:0xf bank_mask:0xf
	v_add_f64 v[3:4], v[3:4], v[5:6]
	s_nop 1
	v_mov_b32_dpp v5, v3 row_bcast:31 row_mask:0xf bank_mask:0xf
	v_mov_b32_dpp v6, v4 row_bcast:31 row_mask:0xf bank_mask:0xf
	v_add_f64 v[3:4], v[3:4], v[5:6]
	v_mbcnt_hi_u32_b32 v6, -1, v67
	v_lshlrev_b32_e32 v5, 2, v6
	v_or_b32_e32 v7, 0xfc, v5
	v_cmp_eq_u32_e32 vcc, 0, v6
	ds_bpermute_b32 v3, v7, v3
	ds_bpermute_b32 v4, v7, v4
	s_and_saveexec_b64 s[2:3], vcc
	s_cbranch_execz .LBB16_3
; %bb.2:
	v_lshrrev_b32_e32 v7, 3, v0
	v_and_b32_e32 v7, 8, v7
	s_waitcnt lgkmcnt(0)
	ds_write_b64 v7, v[3:4]
.LBB16_3:
	s_or_b64 exec, exec, s[2:3]
	v_cmp_gt_u32_e32 vcc, 64, v0
	s_waitcnt lgkmcnt(0)
	s_barrier
	s_and_saveexec_b64 s[2:3], vcc
	s_cbranch_execz .LBB16_5
; %bb.4:
	v_and_b32_e32 v3, 1, v6
	v_lshlrev_b32_e32 v3, 3, v3
	ds_read_b64 v[3:4], v3
	v_or_b32_e32 v6, 4, v5
	s_waitcnt lgkmcnt(0)
	ds_bpermute_b32 v5, v6, v3
	ds_bpermute_b32 v6, v6, v4
	s_waitcnt lgkmcnt(0)
	v_add_f64 v[3:4], v[3:4], v[5:6]
.LBB16_5:
	s_or_b64 exec, exec, s[2:3]
	s_branch .LBB16_86
.LBB16_6:
                                        ; implicit-def: $vgpr3_vgpr4
	s_cbranch_execz .LBB16_86
; %bb.7:
	s_sub_i32 s33, s68, s0
	v_cmp_gt_u32_e32 vcc, s33, v0
                                        ; implicit-def: $vgpr3_vgpr4
	s_and_saveexec_b64 s[0:1], vcc
	s_cbranch_execz .LBB16_9
; %bb.8:
	global_load_dwordx2 v[3:4], v[1:2], off
	s_waitcnt vmcnt(0)
	v_and_b32_e32 v4, 0x7fffffff, v4
.LBB16_9:
	s_or_b64 exec, exec, s[0:1]
	v_or_b32_e32 v5, 0x80, v0
	v_cmp_gt_u32_e64 s[0:1], s33, v5
                                        ; implicit-def: $vgpr5_vgpr6
	s_and_saveexec_b64 s[2:3], s[0:1]
	s_cbranch_execz .LBB16_11
; %bb.10:
	global_load_dwordx2 v[5:6], v[1:2], off offset:1024
	s_waitcnt vmcnt(0)
	v_and_b32_e32 v6, 0x7fffffff, v6
.LBB16_11:
	s_or_b64 exec, exec, s[2:3]
	v_or_b32_e32 v7, 0x100, v0
	v_cmp_gt_u32_e64 s[2:3], s33, v7
                                        ; implicit-def: $vgpr7_vgpr8
	s_and_saveexec_b64 s[4:5], s[2:3]
	s_cbranch_execz .LBB16_13
; %bb.12:
	global_load_dwordx2 v[7:8], v[1:2], off offset:2048
	s_waitcnt vmcnt(0)
	v_and_b32_e32 v8, 0x7fffffff, v8
.LBB16_13:
	s_or_b64 exec, exec, s[4:5]
	v_or_b32_e32 v9, 0x180, v0
	v_cmp_gt_u32_e64 s[4:5], s33, v9
                                        ; implicit-def: $vgpr9_vgpr10
	s_and_saveexec_b64 s[8:9], s[4:5]
	s_cbranch_execz .LBB16_15
; %bb.14:
	global_load_dwordx2 v[9:10], v[1:2], off offset:3072
	s_waitcnt vmcnt(0)
	v_and_b32_e32 v10, 0x7fffffff, v10
.LBB16_15:
	s_or_b64 exec, exec, s[8:9]
	v_or_b32_e32 v11, 0x200, v0
	v_cmp_gt_u32_e64 s[8:9], s33, v11
                                        ; implicit-def: $vgpr11_vgpr12
	s_and_saveexec_b64 s[10:11], s[8:9]
	s_cbranch_execz .LBB16_17
; %bb.16:
	v_add_co_u32_e32 v11, vcc, 0x1000, v1
	v_addc_co_u32_e32 v12, vcc, 0, v2, vcc
	global_load_dwordx2 v[11:12], v[11:12], off
	s_waitcnt vmcnt(0)
	v_and_b32_e32 v12, 0x7fffffff, v12
.LBB16_17:
	s_or_b64 exec, exec, s[10:11]
	v_or_b32_e32 v13, 0x280, v0
	v_cmp_gt_u32_e64 s[10:11], s33, v13
                                        ; implicit-def: $vgpr13_vgpr14
	s_and_saveexec_b64 s[12:13], s[10:11]
	s_cbranch_execz .LBB16_19
; %bb.18:
	v_add_co_u32_e32 v13, vcc, 0x1000, v1
	v_addc_co_u32_e32 v14, vcc, 0, v2, vcc
	global_load_dwordx2 v[13:14], v[13:14], off offset:1024
	s_waitcnt vmcnt(0)
	v_and_b32_e32 v14, 0x7fffffff, v14
.LBB16_19:
	s_or_b64 exec, exec, s[12:13]
	v_or_b32_e32 v15, 0x300, v0
	v_cmp_gt_u32_e64 s[12:13], s33, v15
                                        ; implicit-def: $vgpr15_vgpr16
	s_and_saveexec_b64 s[14:15], s[12:13]
	s_cbranch_execz .LBB16_21
; %bb.20:
	v_add_co_u32_e32 v15, vcc, 0x1000, v1
	v_addc_co_u32_e32 v16, vcc, 0, v2, vcc
	global_load_dwordx2 v[15:16], v[15:16], off offset:2048
	s_waitcnt vmcnt(0)
	v_and_b32_e32 v16, 0x7fffffff, v16
.LBB16_21:
	s_or_b64 exec, exec, s[14:15]
	v_or_b32_e32 v17, 0x380, v0
	v_cmp_gt_u32_e64 s[14:15], s33, v17
                                        ; implicit-def: $vgpr17_vgpr18
	s_and_saveexec_b64 s[16:17], s[14:15]
	s_cbranch_execz .LBB16_23
; %bb.22:
	v_add_co_u32_e32 v17, vcc, 0x1000, v1
	v_addc_co_u32_e32 v18, vcc, 0, v2, vcc
	global_load_dwordx2 v[17:18], v[17:18], off offset:3072
	s_waitcnt vmcnt(0)
	v_and_b32_e32 v18, 0x7fffffff, v18
.LBB16_23:
	s_or_b64 exec, exec, s[16:17]
	v_or_b32_e32 v19, 0x400, v0
	v_cmp_gt_u32_e64 s[16:17], s33, v19
                                        ; implicit-def: $vgpr19_vgpr20
	s_and_saveexec_b64 s[18:19], s[16:17]
	s_cbranch_execz .LBB16_25
; %bb.24:
	v_add_co_u32_e32 v19, vcc, 0x2000, v1
	v_addc_co_u32_e32 v20, vcc, 0, v2, vcc
	global_load_dwordx2 v[19:20], v[19:20], off
	s_waitcnt vmcnt(0)
	v_and_b32_e32 v20, 0x7fffffff, v20
.LBB16_25:
	s_or_b64 exec, exec, s[18:19]
	v_or_b32_e32 v21, 0x480, v0
	v_cmp_gt_u32_e64 s[18:19], s33, v21
                                        ; implicit-def: $vgpr21_vgpr22
	s_and_saveexec_b64 s[20:21], s[18:19]
	s_cbranch_execz .LBB16_27
; %bb.26:
	v_add_co_u32_e32 v21, vcc, 0x2000, v1
	v_addc_co_u32_e32 v22, vcc, 0, v2, vcc
	global_load_dwordx2 v[21:22], v[21:22], off offset:1024
	s_waitcnt vmcnt(0)
	v_and_b32_e32 v22, 0x7fffffff, v22
.LBB16_27:
	s_or_b64 exec, exec, s[20:21]
	v_or_b32_e32 v23, 0x500, v0
	v_cmp_gt_u32_e64 s[20:21], s33, v23
                                        ; implicit-def: $vgpr23_vgpr24
	s_and_saveexec_b64 s[22:23], s[20:21]
	s_cbranch_execz .LBB16_29
; %bb.28:
	v_add_co_u32_e32 v23, vcc, 0x2000, v1
	v_addc_co_u32_e32 v24, vcc, 0, v2, vcc
	global_load_dwordx2 v[23:24], v[23:24], off offset:2048
	s_waitcnt vmcnt(0)
	v_and_b32_e32 v24, 0x7fffffff, v24
.LBB16_29:
	s_or_b64 exec, exec, s[22:23]
	v_or_b32_e32 v25, 0x580, v0
	v_cmp_gt_u32_e64 s[22:23], s33, v25
                                        ; implicit-def: $vgpr25_vgpr26
	s_and_saveexec_b64 s[24:25], s[22:23]
	s_cbranch_execz .LBB16_31
; %bb.30:
	v_add_co_u32_e32 v25, vcc, 0x2000, v1
	v_addc_co_u32_e32 v26, vcc, 0, v2, vcc
	global_load_dwordx2 v[25:26], v[25:26], off offset:3072
	s_waitcnt vmcnt(0)
	v_and_b32_e32 v26, 0x7fffffff, v26
.LBB16_31:
	s_or_b64 exec, exec, s[24:25]
	v_or_b32_e32 v27, 0x600, v0
	v_cmp_gt_u32_e64 s[24:25], s33, v27
                                        ; implicit-def: $vgpr27_vgpr28
	s_and_saveexec_b64 s[26:27], s[24:25]
	s_cbranch_execz .LBB16_33
; %bb.32:
	v_add_co_u32_e32 v27, vcc, 0x3000, v1
	v_addc_co_u32_e32 v28, vcc, 0, v2, vcc
	global_load_dwordx2 v[27:28], v[27:28], off
	s_waitcnt vmcnt(0)
	v_and_b32_e32 v28, 0x7fffffff, v28
.LBB16_33:
	s_or_b64 exec, exec, s[26:27]
	v_or_b32_e32 v29, 0x680, v0
	v_cmp_gt_u32_e64 s[26:27], s33, v29
                                        ; implicit-def: $vgpr29_vgpr30
	s_and_saveexec_b64 s[28:29], s[26:27]
	s_cbranch_execz .LBB16_35
; %bb.34:
	v_add_co_u32_e32 v29, vcc, 0x3000, v1
	v_addc_co_u32_e32 v30, vcc, 0, v2, vcc
	global_load_dwordx2 v[29:30], v[29:30], off offset:1024
	s_waitcnt vmcnt(0)
	v_and_b32_e32 v30, 0x7fffffff, v30
.LBB16_35:
	s_or_b64 exec, exec, s[28:29]
	v_or_b32_e32 v31, 0x700, v0
	v_cmp_gt_u32_e64 s[28:29], s33, v31
                                        ; implicit-def: $vgpr31_vgpr32
	s_and_saveexec_b64 s[30:31], s[28:29]
	s_cbranch_execz .LBB16_37
; %bb.36:
	v_add_co_u32_e32 v31, vcc, 0x3000, v1
	v_addc_co_u32_e32 v32, vcc, 0, v2, vcc
	global_load_dwordx2 v[31:32], v[31:32], off offset:2048
	s_waitcnt vmcnt(0)
	v_and_b32_e32 v32, 0x7fffffff, v32
.LBB16_37:
	s_or_b64 exec, exec, s[30:31]
	v_or_b32_e32 v33, 0x780, v0
	v_cmp_gt_u32_e64 s[30:31], s33, v33
                                        ; implicit-def: $vgpr33_vgpr34
	s_and_saveexec_b64 s[34:35], s[30:31]
	s_cbranch_execz .LBB16_39
; %bb.38:
	v_add_co_u32_e32 v33, vcc, 0x3000, v1
	v_addc_co_u32_e32 v34, vcc, 0, v2, vcc
	global_load_dwordx2 v[33:34], v[33:34], off offset:3072
	s_waitcnt vmcnt(0)
	v_and_b32_e32 v34, 0x7fffffff, v34
.LBB16_39:
	s_or_b64 exec, exec, s[34:35]
	v_or_b32_e32 v35, 0x800, v0
	v_cmp_gt_u32_e64 s[34:35], s33, v35
                                        ; implicit-def: $vgpr35_vgpr36
	s_and_saveexec_b64 s[36:37], s[34:35]
	s_cbranch_execz .LBB16_41
; %bb.40:
	v_add_co_u32_e32 v35, vcc, 0x4000, v1
	v_addc_co_u32_e32 v36, vcc, 0, v2, vcc
	global_load_dwordx2 v[35:36], v[35:36], off
	s_waitcnt vmcnt(0)
	v_and_b32_e32 v36, 0x7fffffff, v36
.LBB16_41:
	s_or_b64 exec, exec, s[36:37]
	v_or_b32_e32 v37, 0x880, v0
	v_cmp_gt_u32_e64 s[36:37], s33, v37
                                        ; implicit-def: $vgpr37_vgpr38
	s_and_saveexec_b64 s[38:39], s[36:37]
	s_cbranch_execz .LBB16_43
; %bb.42:
	v_add_co_u32_e32 v37, vcc, 0x4000, v1
	v_addc_co_u32_e32 v38, vcc, 0, v2, vcc
	global_load_dwordx2 v[37:38], v[37:38], off offset:1024
	s_waitcnt vmcnt(0)
	v_and_b32_e32 v38, 0x7fffffff, v38
.LBB16_43:
	s_or_b64 exec, exec, s[38:39]
	v_or_b32_e32 v39, 0x900, v0
	v_cmp_gt_u32_e64 s[38:39], s33, v39
                                        ; implicit-def: $vgpr39_vgpr40
	s_and_saveexec_b64 s[40:41], s[38:39]
	s_cbranch_execz .LBB16_45
; %bb.44:
	v_add_co_u32_e32 v39, vcc, 0x4000, v1
	v_addc_co_u32_e32 v40, vcc, 0, v2, vcc
	global_load_dwordx2 v[39:40], v[39:40], off offset:2048
	s_waitcnt vmcnt(0)
	v_and_b32_e32 v40, 0x7fffffff, v40
.LBB16_45:
	s_or_b64 exec, exec, s[40:41]
	v_or_b32_e32 v41, 0x980, v0
	v_cmp_gt_u32_e64 s[40:41], s33, v41
                                        ; implicit-def: $vgpr41_vgpr42
	s_and_saveexec_b64 s[42:43], s[40:41]
	s_cbranch_execz .LBB16_47
; %bb.46:
	v_add_co_u32_e32 v41, vcc, 0x4000, v1
	v_addc_co_u32_e32 v42, vcc, 0, v2, vcc
	global_load_dwordx2 v[41:42], v[41:42], off offset:3072
	s_waitcnt vmcnt(0)
	v_and_b32_e32 v42, 0x7fffffff, v42
.LBB16_47:
	s_or_b64 exec, exec, s[42:43]
	v_or_b32_e32 v43, 0xa00, v0
	v_cmp_gt_u32_e64 s[42:43], s33, v43
                                        ; implicit-def: $vgpr43_vgpr44
	s_and_saveexec_b64 s[44:45], s[42:43]
	s_cbranch_execz .LBB16_49
; %bb.48:
	v_add_co_u32_e32 v43, vcc, 0x5000, v1
	v_addc_co_u32_e32 v44, vcc, 0, v2, vcc
	global_load_dwordx2 v[43:44], v[43:44], off
	s_waitcnt vmcnt(0)
	v_and_b32_e32 v44, 0x7fffffff, v44
.LBB16_49:
	s_or_b64 exec, exec, s[44:45]
	v_or_b32_e32 v45, 0xa80, v0
	v_cmp_gt_u32_e64 s[44:45], s33, v45
                                        ; implicit-def: $vgpr45_vgpr46
	s_and_saveexec_b64 s[46:47], s[44:45]
	s_cbranch_execz .LBB16_51
; %bb.50:
	v_add_co_u32_e32 v45, vcc, 0x5000, v1
	v_addc_co_u32_e32 v46, vcc, 0, v2, vcc
	global_load_dwordx2 v[45:46], v[45:46], off offset:1024
	s_waitcnt vmcnt(0)
	v_and_b32_e32 v46, 0x7fffffff, v46
.LBB16_51:
	s_or_b64 exec, exec, s[46:47]
	v_or_b32_e32 v47, 0xb00, v0
	v_cmp_gt_u32_e64 s[46:47], s33, v47
                                        ; implicit-def: $vgpr47_vgpr48
	s_and_saveexec_b64 s[48:49], s[46:47]
	s_cbranch_execz .LBB16_53
; %bb.52:
	v_add_co_u32_e32 v47, vcc, 0x5000, v1
	v_addc_co_u32_e32 v48, vcc, 0, v2, vcc
	global_load_dwordx2 v[47:48], v[47:48], off offset:2048
	s_waitcnt vmcnt(0)
	v_and_b32_e32 v48, 0x7fffffff, v48
.LBB16_53:
	s_or_b64 exec, exec, s[48:49]
	v_or_b32_e32 v49, 0xb80, v0
	v_cmp_gt_u32_e64 s[48:49], s33, v49
                                        ; implicit-def: $vgpr49_vgpr50
	s_and_saveexec_b64 s[50:51], s[48:49]
	s_cbranch_execz .LBB16_55
; %bb.54:
	v_add_co_u32_e32 v49, vcc, 0x5000, v1
	v_addc_co_u32_e32 v50, vcc, 0, v2, vcc
	global_load_dwordx2 v[49:50], v[49:50], off offset:3072
	s_waitcnt vmcnt(0)
	v_and_b32_e32 v50, 0x7fffffff, v50
.LBB16_55:
	s_or_b64 exec, exec, s[50:51]
	v_or_b32_e32 v51, 0xc00, v0
	v_cmp_gt_u32_e64 s[50:51], s33, v51
                                        ; implicit-def: $vgpr51_vgpr52
	s_and_saveexec_b64 s[52:53], s[50:51]
	s_cbranch_execz .LBB16_57
; %bb.56:
	v_add_co_u32_e32 v51, vcc, 0x6000, v1
	v_addc_co_u32_e32 v52, vcc, 0, v2, vcc
	global_load_dwordx2 v[51:52], v[51:52], off
	s_waitcnt vmcnt(0)
	v_and_b32_e32 v52, 0x7fffffff, v52
.LBB16_57:
	s_or_b64 exec, exec, s[52:53]
	v_or_b32_e32 v53, 0xc80, v0
	v_cmp_gt_u32_e64 s[52:53], s33, v53
                                        ; implicit-def: $vgpr53_vgpr54
	s_and_saveexec_b64 s[54:55], s[52:53]
	s_cbranch_execz .LBB16_59
; %bb.58:
	v_add_co_u32_e32 v53, vcc, 0x6000, v1
	v_addc_co_u32_e32 v54, vcc, 0, v2, vcc
	global_load_dwordx2 v[53:54], v[53:54], off offset:1024
	s_waitcnt vmcnt(0)
	v_and_b32_e32 v54, 0x7fffffff, v54
.LBB16_59:
	s_or_b64 exec, exec, s[54:55]
	v_or_b32_e32 v55, 0xd00, v0
	v_cmp_gt_u32_e64 s[54:55], s33, v55
                                        ; implicit-def: $vgpr55_vgpr56
	s_and_saveexec_b64 s[56:57], s[54:55]
	s_cbranch_execz .LBB16_61
; %bb.60:
	v_add_co_u32_e32 v55, vcc, 0x6000, v1
	v_addc_co_u32_e32 v56, vcc, 0, v2, vcc
	global_load_dwordx2 v[55:56], v[55:56], off offset:2048
	s_waitcnt vmcnt(0)
	v_and_b32_e32 v56, 0x7fffffff, v56
.LBB16_61:
	s_or_b64 exec, exec, s[56:57]
	v_or_b32_e32 v57, 0xd80, v0
	v_cmp_gt_u32_e64 s[56:57], s33, v57
                                        ; implicit-def: $vgpr57_vgpr58
	s_and_saveexec_b64 s[58:59], s[56:57]
	s_cbranch_execz .LBB16_63
; %bb.62:
	v_add_co_u32_e32 v57, vcc, 0x6000, v1
	v_addc_co_u32_e32 v58, vcc, 0, v2, vcc
	global_load_dwordx2 v[57:58], v[57:58], off offset:3072
	s_waitcnt vmcnt(0)
	v_and_b32_e32 v58, 0x7fffffff, v58
.LBB16_63:
	s_or_b64 exec, exec, s[58:59]
	v_or_b32_e32 v59, 0xe00, v0
	v_cmp_gt_u32_e64 s[58:59], s33, v59
                                        ; implicit-def: $vgpr59_vgpr60
	s_and_saveexec_b64 s[60:61], s[58:59]
	s_cbranch_execz .LBB16_65
; %bb.64:
	v_add_co_u32_e32 v59, vcc, 0x7000, v1
	v_addc_co_u32_e32 v60, vcc, 0, v2, vcc
	global_load_dwordx2 v[59:60], v[59:60], off
	s_waitcnt vmcnt(0)
	v_and_b32_e32 v60, 0x7fffffff, v60
.LBB16_65:
	s_or_b64 exec, exec, s[60:61]
	v_or_b32_e32 v61, 0xe80, v0
	v_cmp_gt_u32_e64 s[60:61], s33, v61
                                        ; implicit-def: $vgpr61_vgpr62
	s_and_saveexec_b64 s[62:63], s[60:61]
	s_cbranch_execz .LBB16_67
; %bb.66:
	v_add_co_u32_e32 v61, vcc, 0x7000, v1
	v_addc_co_u32_e32 v62, vcc, 0, v2, vcc
	global_load_dwordx2 v[61:62], v[61:62], off offset:1024
	s_waitcnt vmcnt(0)
	v_and_b32_e32 v62, 0x7fffffff, v62
.LBB16_67:
	s_or_b64 exec, exec, s[62:63]
	v_or_b32_e32 v63, 0xf00, v0
	v_cmp_gt_u32_e64 s[62:63], s33, v63
                                        ; implicit-def: $vgpr63_vgpr64
	s_and_saveexec_b64 s[64:65], s[62:63]
	s_cbranch_execz .LBB16_69
; %bb.68:
	v_add_co_u32_e32 v63, vcc, 0x7000, v1
	v_addc_co_u32_e32 v64, vcc, 0, v2, vcc
	global_load_dwordx2 v[63:64], v[63:64], off offset:2048
	s_waitcnt vmcnt(0)
	v_and_b32_e32 v64, 0x7fffffff, v64
.LBB16_69:
	s_or_b64 exec, exec, s[64:65]
	v_or_b32_e32 v65, 0xf80, v0
	v_cmp_gt_u32_e64 s[64:65], s33, v65
                                        ; implicit-def: $vgpr65_vgpr66
	s_and_saveexec_b64 s[72:73], s[64:65]
	s_cbranch_execz .LBB16_71
; %bb.70:
	v_add_co_u32_e32 v1, vcc, 0x7000, v1
	v_addc_co_u32_e32 v2, vcc, 0, v2, vcc
	global_load_dwordx2 v[65:66], v[1:2], off offset:3072
	s_waitcnt vmcnt(0)
	v_and_b32_e32 v66, 0x7fffffff, v66
.LBB16_71:
	s_or_b64 exec, exec, s[72:73]
	v_add_f64 v[1:2], v[3:4], v[5:6]
	v_mbcnt_hi_u32_b32 v5, -1, v67
	v_cndmask_b32_e64 v2, v4, v2, s[0:1]
	v_cndmask_b32_e64 v1, v3, v1, s[0:1]
	v_add_f64 v[3:4], v[1:2], v[7:8]
	v_and_b32_e32 v7, 63, v5
	v_cmp_ne_u32_e32 vcc, 63, v7
	v_addc_co_u32_e32 v6, vcc, 0, v5, vcc
	v_lshlrev_b32_e32 v6, 2, v6
	v_add_u32_e32 v8, 1, v5
	v_cndmask_b32_e64 v2, v2, v4, s[2:3]
	v_cndmask_b32_e64 v1, v1, v3, s[2:3]
	v_add_f64 v[3:4], v[1:2], v[9:10]
	s_min_u32 s2, s33, 0x80
	v_cndmask_b32_e64 v2, v2, v4, s[4:5]
	v_cndmask_b32_e64 v1, v1, v3, s[4:5]
	v_add_f64 v[3:4], v[1:2], v[11:12]
	v_cndmask_b32_e64 v2, v2, v4, s[8:9]
	v_cndmask_b32_e64 v1, v1, v3, s[8:9]
	v_add_f64 v[3:4], v[1:2], v[13:14]
	;; [unrolled: 3-line block ×28, first 2 shown]
	v_cndmask_b32_e64 v2, v2, v4, s[64:65]
	v_cndmask_b32_e64 v1, v1, v3, s[64:65]
	ds_bpermute_b32 v3, v6, v1
	ds_bpermute_b32 v4, v6, v2
	v_and_b32_e32 v6, 64, v0
	v_sub_u32_e64 v6, s2, v6 clamp
	v_cmp_lt_u32_e32 vcc, v8, v6
	s_and_saveexec_b64 s[0:1], vcc
	s_cbranch_execz .LBB16_73
; %bb.72:
	s_waitcnt lgkmcnt(0)
	v_add_f64 v[1:2], v[1:2], v[3:4]
.LBB16_73:
	s_or_b64 exec, exec, s[0:1]
	v_cmp_gt_u32_e32 vcc, 62, v7
	s_waitcnt lgkmcnt(1)
	v_cndmask_b32_e64 v3, 0, 1, vcc
	v_lshlrev_b32_e32 v3, 1, v3
	s_waitcnt lgkmcnt(0)
	v_add_lshl_u32 v4, v3, v5, 2
	ds_bpermute_b32 v3, v4, v1
	ds_bpermute_b32 v4, v4, v2
	v_add_u32_e32 v8, 2, v5
	v_cmp_lt_u32_e32 vcc, v8, v6
	s_and_saveexec_b64 s[0:1], vcc
	s_cbranch_execz .LBB16_75
; %bb.74:
	s_waitcnt lgkmcnt(0)
	v_add_f64 v[1:2], v[1:2], v[3:4]
.LBB16_75:
	s_or_b64 exec, exec, s[0:1]
	v_cmp_gt_u32_e32 vcc, 60, v7
	s_waitcnt lgkmcnt(1)
	v_cndmask_b32_e64 v3, 0, 1, vcc
	v_lshlrev_b32_e32 v3, 2, v3
	s_waitcnt lgkmcnt(0)
	v_add_lshl_u32 v4, v3, v5, 2
	ds_bpermute_b32 v3, v4, v1
	ds_bpermute_b32 v4, v4, v2
	v_add_u32_e32 v8, 4, v5
	;; [unrolled: 17-line block ×5, first 2 shown]
	v_cmp_lt_u32_e32 vcc, v7, v6
	s_waitcnt lgkmcnt(0)
	v_add_f64 v[3:4], v[1:2], v[3:4]
	v_cndmask_b32_e32 v4, v2, v4, vcc
	v_cndmask_b32_e32 v3, v1, v3, vcc
	v_cmp_eq_u32_e32 vcc, 0, v5
	s_and_saveexec_b64 s[0:1], vcc
	s_cbranch_execz .LBB16_83
; %bb.82:
	v_lshrrev_b32_e32 v1, 3, v0
	v_and_b32_e32 v1, 8, v1
	ds_write_b64 v1, v[3:4] offset:16
.LBB16_83:
	s_or_b64 exec, exec, s[0:1]
	v_cmp_gt_u32_e32 vcc, 2, v0
	s_waitcnt lgkmcnt(0)
	s_barrier
	s_and_saveexec_b64 s[0:1], vcc
	s_cbranch_execz .LBB16_85
; %bb.84:
	v_lshlrev_b32_e32 v1, 3, v5
	ds_read_b64 v[1:2], v1 offset:16
	v_lshl_or_b32 v4, v5, 2, 4
	s_add_i32 s2, s2, 63
	v_and_b32_e32 v5, 1, v5
	s_lshr_b32 s2, s2, 6
	s_waitcnt lgkmcnt(0)
	ds_bpermute_b32 v3, v4, v1
	ds_bpermute_b32 v4, v4, v2
	v_add_u32_e32 v5, 1, v5
	v_cmp_gt_u32_e32 vcc, s2, v5
	s_waitcnt lgkmcnt(0)
	v_add_f64 v[3:4], v[1:2], v[3:4]
	v_cndmask_b32_e32 v4, v2, v4, vcc
	v_cndmask_b32_e32 v3, v1, v3, vcc
.LBB16_85:
	s_or_b64 exec, exec, s[0:1]
.LBB16_86:
	v_cmp_eq_u32_e32 vcc, 0, v0
	s_and_saveexec_b64 s[0:1], vcc
	s_cbranch_execnz .LBB16_88
; %bb.87:
	s_endpgm
.LBB16_88:
	v_add_f64 v[0:1], v[3:4], s[66:67]
	s_lshl_b64 s[0:1], s[6:7], 3
	s_add_u32 s0, s70, s0
	s_addc_u32 s1, s71, s1
	s_cmp_eq_u64 s[68:69], 0
	v_mov_b32_e32 v3, s67
	s_cselect_b64 vcc, -1, 0
	v_mov_b32_e32 v2, 0
	v_cndmask_b32_e32 v1, v1, v3, vcc
	v_mov_b32_e32 v3, s66
	v_cndmask_b32_e32 v0, v0, v3, vcc
	global_store_dwordx2 v2, v[0:1], s[0:1]
	s_endpgm
	.section	.rodata,"a",@progbits
	.p2align	6, 0x0
	.amdhsa_kernel _ZN7rocprim6detail19block_reduce_kernelILb1ELb1ELj8ENS0_21wrapped_reduce_configINS_14default_configEdEEdN6thrust11hip_rocprim26transform_input_iterator_tIdNS5_6detail15normal_iteratorINS5_10device_ptrIdEEEEZ4mainEUldE_EEPddNS5_4plusIdEEEEvT4_mT5_T6_T7_
		.amdhsa_group_segment_fixed_size 32
		.amdhsa_private_segment_fixed_size 0
		.amdhsa_kernarg_size 44
		.amdhsa_user_sgpr_count 6
		.amdhsa_user_sgpr_private_segment_buffer 1
		.amdhsa_user_sgpr_dispatch_ptr 0
		.amdhsa_user_sgpr_queue_ptr 0
		.amdhsa_user_sgpr_kernarg_segment_ptr 1
		.amdhsa_user_sgpr_dispatch_id 0
		.amdhsa_user_sgpr_flat_scratch_init 0
		.amdhsa_user_sgpr_private_segment_size 0
		.amdhsa_uses_dynamic_stack 0
		.amdhsa_system_sgpr_private_segment_wavefront_offset 0
		.amdhsa_system_sgpr_workgroup_id_x 1
		.amdhsa_system_sgpr_workgroup_id_y 0
		.amdhsa_system_sgpr_workgroup_id_z 0
		.amdhsa_system_sgpr_workgroup_info 0
		.amdhsa_system_vgpr_workitem_id 0
		.amdhsa_next_free_vgpr 68
		.amdhsa_next_free_sgpr 74
		.amdhsa_reserve_vcc 1
		.amdhsa_reserve_flat_scratch 0
		.amdhsa_float_round_mode_32 0
		.amdhsa_float_round_mode_16_64 0
		.amdhsa_float_denorm_mode_32 3
		.amdhsa_float_denorm_mode_16_64 3
		.amdhsa_dx10_clamp 1
		.amdhsa_ieee_mode 1
		.amdhsa_fp16_overflow 0
		.amdhsa_exception_fp_ieee_invalid_op 0
		.amdhsa_exception_fp_denorm_src 0
		.amdhsa_exception_fp_ieee_div_zero 0
		.amdhsa_exception_fp_ieee_overflow 0
		.amdhsa_exception_fp_ieee_underflow 0
		.amdhsa_exception_fp_ieee_inexact 0
		.amdhsa_exception_int_div_zero 0
	.end_amdhsa_kernel
	.section	.text._ZN7rocprim6detail19block_reduce_kernelILb1ELb1ELj8ENS0_21wrapped_reduce_configINS_14default_configEdEEdN6thrust11hip_rocprim26transform_input_iterator_tIdNS5_6detail15normal_iteratorINS5_10device_ptrIdEEEEZ4mainEUldE_EEPddNS5_4plusIdEEEEvT4_mT5_T6_T7_,"axG",@progbits,_ZN7rocprim6detail19block_reduce_kernelILb1ELb1ELj8ENS0_21wrapped_reduce_configINS_14default_configEdEEdN6thrust11hip_rocprim26transform_input_iterator_tIdNS5_6detail15normal_iteratorINS5_10device_ptrIdEEEEZ4mainEUldE_EEPddNS5_4plusIdEEEEvT4_mT5_T6_T7_,comdat
.Lfunc_end16:
	.size	_ZN7rocprim6detail19block_reduce_kernelILb1ELb1ELj8ENS0_21wrapped_reduce_configINS_14default_configEdEEdN6thrust11hip_rocprim26transform_input_iterator_tIdNS5_6detail15normal_iteratorINS5_10device_ptrIdEEEEZ4mainEUldE_EEPddNS5_4plusIdEEEEvT4_mT5_T6_T7_, .Lfunc_end16-_ZN7rocprim6detail19block_reduce_kernelILb1ELb1ELj8ENS0_21wrapped_reduce_configINS_14default_configEdEEdN6thrust11hip_rocprim26transform_input_iterator_tIdNS5_6detail15normal_iteratorINS5_10device_ptrIdEEEEZ4mainEUldE_EEPddNS5_4plusIdEEEEvT4_mT5_T6_T7_
                                        ; -- End function
	.section	.AMDGPU.csdata,"",@progbits
; Kernel info:
; codeLenInByte = 4424
; NumSgprs: 78
; NumVgprs: 68
; ScratchSize: 0
; MemoryBound: 1
; FloatMode: 240
; IeeeMode: 1
; LDSByteSize: 32 bytes/workgroup (compile time only)
; SGPRBlocks: 9
; VGPRBlocks: 16
; NumSGPRsForWavesPerEU: 78
; NumVGPRsForWavesPerEU: 68
; Occupancy: 3
; WaveLimiterHint : 1
; COMPUTE_PGM_RSRC2:SCRATCH_EN: 0
; COMPUTE_PGM_RSRC2:USER_SGPR: 6
; COMPUTE_PGM_RSRC2:TRAP_HANDLER: 0
; COMPUTE_PGM_RSRC2:TGID_X_EN: 1
; COMPUTE_PGM_RSRC2:TGID_Y_EN: 0
; COMPUTE_PGM_RSRC2:TGID_Z_EN: 0
; COMPUTE_PGM_RSRC2:TIDIG_COMP_CNT: 0
	.section	.text._ZN7rocprim6detail19block_reduce_kernelILb1ELb1ELj16ENS0_21wrapped_reduce_configINS_14default_configEdEEdN6thrust11hip_rocprim26transform_input_iterator_tIdNS5_6detail15normal_iteratorINS5_10device_ptrIdEEEEZ4mainEUldE_EEPddNS5_4plusIdEEEEvT4_mT5_T6_T7_,"axG",@progbits,_ZN7rocprim6detail19block_reduce_kernelILb1ELb1ELj16ENS0_21wrapped_reduce_configINS_14default_configEdEEdN6thrust11hip_rocprim26transform_input_iterator_tIdNS5_6detail15normal_iteratorINS5_10device_ptrIdEEEEZ4mainEUldE_EEPddNS5_4plusIdEEEEvT4_mT5_T6_T7_,comdat
	.globl	_ZN7rocprim6detail19block_reduce_kernelILb1ELb1ELj16ENS0_21wrapped_reduce_configINS_14default_configEdEEdN6thrust11hip_rocprim26transform_input_iterator_tIdNS5_6detail15normal_iteratorINS5_10device_ptrIdEEEEZ4mainEUldE_EEPddNS5_4plusIdEEEEvT4_mT5_T6_T7_ ; -- Begin function _ZN7rocprim6detail19block_reduce_kernelILb1ELb1ELj16ENS0_21wrapped_reduce_configINS_14default_configEdEEdN6thrust11hip_rocprim26transform_input_iterator_tIdNS5_6detail15normal_iteratorINS5_10device_ptrIdEEEEZ4mainEUldE_EEPddNS5_4plusIdEEEEvT4_mT5_T6_T7_
	.p2align	8
	.type	_ZN7rocprim6detail19block_reduce_kernelILb1ELb1ELj16ENS0_21wrapped_reduce_configINS_14default_configEdEEdN6thrust11hip_rocprim26transform_input_iterator_tIdNS5_6detail15normal_iteratorINS5_10device_ptrIdEEEEZ4mainEUldE_EEPddNS5_4plusIdEEEEvT4_mT5_T6_T7_,@function
_ZN7rocprim6detail19block_reduce_kernelILb1ELb1ELj16ENS0_21wrapped_reduce_configINS_14default_configEdEEdN6thrust11hip_rocprim26transform_input_iterator_tIdNS5_6detail15normal_iteratorINS5_10device_ptrIdEEEEZ4mainEUldE_EEPddNS5_4plusIdEEEEvT4_mT5_T6_T7_: ; @_ZN7rocprim6detail19block_reduce_kernelILb1ELb1ELj16ENS0_21wrapped_reduce_configINS_14default_configEdEEdN6thrust11hip_rocprim26transform_input_iterator_tIdNS5_6detail15normal_iteratorINS5_10device_ptrIdEEEEZ4mainEUldE_EEPddNS5_4plusIdEEEEvT4_mT5_T6_T7_
; %bb.0:
	s_load_dwordx2 s[2:3], s[4:5], 0x0
	s_load_dwordx4 s[8:11], s[4:5], 0x10
	s_load_dwordx2 s[0:1], s[4:5], 0x20
                                        ; implicit-def: $vgpr132 : SGPR spill to VGPR lane
                                        ; kill: killed $sgpr4_sgpr5
	v_lshlrev_b32_e32 v1, 3, v0
	v_mbcnt_lo_u32_b32 v131, -1, 0
	s_waitcnt lgkmcnt(0)
	v_writelane_b32 v132, s0, 0
	v_writelane_b32 v132, s1, 1
	;; [unrolled: 1-line block ×4, first 2 shown]
	s_lshl_b32 s0, s6, 13
	s_mov_b32 s1, 0
	v_writelane_b32 v132, s10, 4
	v_writelane_b32 v132, s11, 5
	s_lshr_b64 s[4:5], s[8:9], 13
	s_lshl_b64 s[8:9], s[0:1], 3
	s_mov_b32 s7, s1
	s_add_u32 s1, s2, s8
	s_addc_u32 s2, s3, s9
	v_mov_b32_e32 v2, s2
	v_add_co_u32_e32 v1, vcc, s1, v1
	s_cmp_lg_u64 s[4:5], s[6:7]
	v_addc_co_u32_e32 v2, vcc, 0, v2, vcc
	s_cbranch_scc0 .LBB17_6
; %bb.1:
	global_load_dwordx2 v[3:4], v[1:2], off
	global_load_dwordx2 v[5:6], v[1:2], off offset:1024
	global_load_dwordx2 v[7:8], v[1:2], off offset:2048
	;; [unrolled: 1-line block ×3, first 2 shown]
	v_add_co_u32_e32 v11, vcc, 0x1000, v1
	v_addc_co_u32_e32 v12, vcc, 0, v2, vcc
	global_load_dwordx2 v[13:14], v[11:12], off
	global_load_dwordx2 v[15:16], v[11:12], off offset:1024
	global_load_dwordx2 v[17:18], v[11:12], off offset:2048
	;; [unrolled: 1-line block ×3, first 2 shown]
	v_add_co_u32_e32 v11, vcc, 0x2000, v1
	v_addc_co_u32_e32 v12, vcc, 0, v2, vcc
	global_load_dwordx2 v[21:22], v[11:12], off
	global_load_dwordx2 v[23:24], v[11:12], off offset:1024
	global_load_dwordx2 v[25:26], v[11:12], off offset:2048
	s_waitcnt vmcnt(9)
	v_add_f64 v[3:4], |v[3:4]|, |v[5:6]|
	global_load_dwordx2 v[5:6], v[11:12], off offset:3072
	v_add_co_u32_e32 v11, vcc, 0x3000, v1
	v_addc_co_u32_e32 v12, vcc, 0, v2, vcc
	s_waitcnt vmcnt(9)
	v_add_f64 v[3:4], v[3:4], |v[7:8]|
	global_load_dwordx2 v[7:8], v[11:12], off
	s_waitcnt vmcnt(9)
	v_add_f64 v[3:4], v[3:4], |v[9:10]|
	global_load_dwordx2 v[9:10], v[11:12], off offset:1024
	s_waitcnt vmcnt(9)
	v_add_f64 v[3:4], v[3:4], |v[13:14]|
	global_load_dwordx2 v[13:14], v[11:12], off offset:2048
	s_waitcnt vmcnt(9)
	v_add_f64 v[3:4], v[3:4], |v[15:16]|
	v_add_co_u32_e32 v15, vcc, 0x4000, v1
	v_addc_co_u32_e32 v16, vcc, 0, v2, vcc
	s_waitcnt vmcnt(8)
	v_add_f64 v[3:4], v[3:4], |v[17:18]|
	global_load_dwordx2 v[17:18], v[15:16], off
	s_waitcnt vmcnt(8)
	v_add_f64 v[3:4], v[3:4], |v[19:20]|
	global_load_dwordx2 v[11:12], v[11:12], off offset:3072
	s_waitcnt vmcnt(8)
	v_add_f64 v[3:4], v[3:4], |v[21:22]|
	global_load_dwordx2 v[19:20], v[15:16], off offset:1024
	global_load_dwordx2 v[21:22], v[15:16], off offset:2048
	s_waitcnt vmcnt(9)
	v_add_f64 v[3:4], v[3:4], |v[23:24]|
	v_add_co_u32_e32 v23, vcc, 0x5000, v1
	v_addc_co_u32_e32 v24, vcc, 0, v2, vcc
	s_waitcnt vmcnt(8)
	v_add_f64 v[3:4], v[3:4], |v[25:26]|
	global_load_dwordx2 v[25:26], v[23:24], off
	s_waitcnt vmcnt(8)
	v_add_f64 v[3:4], v[3:4], |v[5:6]|
	global_load_dwordx2 v[15:16], v[15:16], off offset:3072
	s_waitcnt vmcnt(8)
	v_add_f64 v[3:4], v[3:4], |v[7:8]|
	global_load_dwordx2 v[5:6], v[23:24], off offset:1024
	global_load_dwordx2 v[7:8], v[23:24], off offset:2048
	s_waitcnt vmcnt(9)
	v_add_f64 v[3:4], v[3:4], |v[9:10]|
	global_load_dwordx2 v[9:10], v[23:24], off offset:3072
	v_add_co_u32_e32 v23, vcc, 0x6000, v1
	v_addc_co_u32_e32 v24, vcc, 0, v2, vcc
	s_waitcnt vmcnt(9)
	v_add_f64 v[3:4], v[3:4], |v[13:14]|
	global_load_dwordx2 v[13:14], v[23:24], off
	s_waitcnt vmcnt(8)
	v_add_f64 v[3:4], v[3:4], |v[11:12]|
	global_load_dwordx2 v[11:12], v[23:24], off offset:1024
	v_add_f64 v[3:4], v[3:4], |v[17:18]|
	global_load_dwordx2 v[17:18], v[23:24], off offset:2048
	s_waitcnt vmcnt(9)
	v_add_f64 v[3:4], v[3:4], |v[19:20]|
	global_load_dwordx2 v[19:20], v[23:24], off offset:3072
	v_add_co_u32_e32 v23, vcc, 0x7000, v1
	v_addc_co_u32_e32 v24, vcc, 0, v2, vcc
	s_waitcnt vmcnt(9)
	v_add_f64 v[3:4], v[3:4], |v[21:22]|
	global_load_dwordx2 v[21:22], v[23:24], off
	s_waitcnt vmcnt(8)
	v_add_f64 v[3:4], v[3:4], |v[15:16]|
	global_load_dwordx2 v[15:16], v[23:24], off offset:1024
	v_add_f64 v[3:4], v[3:4], |v[25:26]|
	global_load_dwordx2 v[25:26], v[23:24], off offset:2048
	s_waitcnt vmcnt(9)
	v_add_f64 v[3:4], v[3:4], |v[5:6]|
	global_load_dwordx2 v[5:6], v[23:24], off offset:3072
	v_add_co_u32_e32 v23, vcc, 0x8000, v1
	v_addc_co_u32_e32 v24, vcc, 0, v2, vcc
	s_waitcnt vmcnt(9)
	v_add_f64 v[3:4], v[3:4], |v[7:8]|
	global_load_dwordx2 v[7:8], v[23:24], off
	s_waitcnt vmcnt(9)
	v_add_f64 v[3:4], v[3:4], |v[9:10]|
	global_load_dwordx2 v[9:10], v[23:24], off offset:1024
	s_waitcnt vmcnt(9)
	v_add_f64 v[3:4], v[3:4], |v[13:14]|
	global_load_dwordx2 v[13:14], v[23:24], off offset:2048
	s_waitcnt vmcnt(9)
	v_add_f64 v[3:4], v[3:4], |v[11:12]|
	global_load_dwordx2 v[11:12], v[23:24], off offset:3072
	v_add_co_u32_e32 v23, vcc, 0x9000, v1
	v_addc_co_u32_e32 v24, vcc, 0, v2, vcc
	s_waitcnt vmcnt(9)
	v_add_f64 v[3:4], v[3:4], |v[17:18]|
	global_load_dwordx2 v[17:18], v[23:24], off
	s_waitcnt vmcnt(9)
	v_add_f64 v[3:4], v[3:4], |v[19:20]|
	global_load_dwordx2 v[19:20], v[23:24], off offset:1024
	s_waitcnt vmcnt(9)
	;; [unrolled: 14-line block ×8, first 2 shown]
	v_add_f64 v[3:4], v[3:4], |v[7:8]|
	global_load_dwordx2 v[7:8], v[23:24], off offset:2048
	global_load_dwordx2 v[27:28], v[23:24], off offset:3072
	s_waitcnt vmcnt(10)
	v_add_f64 v[3:4], v[3:4], |v[9:10]|
	s_waitcnt vmcnt(9)
	v_add_f64 v[3:4], v[3:4], |v[13:14]|
	;; [unrolled: 2-line block ×11, first 2 shown]
	s_nop 1
	v_mov_b32_dpp v5, v3 quad_perm:[1,0,3,2] row_mask:0xf bank_mask:0xf
	v_mov_b32_dpp v6, v4 quad_perm:[1,0,3,2] row_mask:0xf bank_mask:0xf
	v_add_f64 v[3:4], v[3:4], v[5:6]
	s_nop 1
	v_mov_b32_dpp v5, v3 quad_perm:[2,3,0,1] row_mask:0xf bank_mask:0xf
	v_mov_b32_dpp v6, v4 quad_perm:[2,3,0,1] row_mask:0xf bank_mask:0xf
	v_add_f64 v[3:4], v[3:4], v[5:6]
	s_nop 1
	v_mov_b32_dpp v5, v3 row_ror:4 row_mask:0xf bank_mask:0xf
	v_mov_b32_dpp v6, v4 row_ror:4 row_mask:0xf bank_mask:0xf
	v_add_f64 v[3:4], v[3:4], v[5:6]
	s_nop 1
	v_mov_b32_dpp v5, v3 row_ror:8 row_mask:0xf bank_mask:0xf
	v_mov_b32_dpp v6, v4 row_ror:8 row_mask:0xf bank_mask:0xf
	v_add_f64 v[3:4], v[3:4], v[5:6]
	s_nop 1
	v_mov_b32_dpp v5, v3 row_bcast:15 row_mask:0xf bank_mask:0xf
	v_mov_b32_dpp v6, v4 row_bcast:15 row_mask:0xf bank_mask:0xf
	v_add_f64 v[3:4], v[3:4], v[5:6]
	s_nop 1
	v_mov_b32_dpp v5, v3 row_bcast:31 row_mask:0xf bank_mask:0xf
	v_mov_b32_dpp v6, v4 row_bcast:31 row_mask:0xf bank_mask:0xf
	v_add_f64 v[3:4], v[3:4], v[5:6]
	v_mbcnt_hi_u32_b32 v6, -1, v131
	v_lshlrev_b32_e32 v5, 2, v6
	v_or_b32_e32 v7, 0xfc, v5
	v_cmp_eq_u32_e32 vcc, 0, v6
	ds_bpermute_b32 v3, v7, v3
	ds_bpermute_b32 v4, v7, v4
	s_and_saveexec_b64 s[2:3], vcc
	s_cbranch_execz .LBB17_3
; %bb.2:
	v_lshrrev_b32_e32 v7, 3, v0
	v_and_b32_e32 v7, 8, v7
	s_waitcnt lgkmcnt(0)
	ds_write_b64 v7, v[3:4]
.LBB17_3:
	s_or_b64 exec, exec, s[2:3]
	v_cmp_gt_u32_e32 vcc, 64, v0
	s_waitcnt lgkmcnt(0)
	s_barrier
	s_and_saveexec_b64 s[2:3], vcc
	s_cbranch_execz .LBB17_5
; %bb.4:
	v_and_b32_e32 v3, 1, v6
	v_lshlrev_b32_e32 v3, 3, v3
	ds_read_b64 v[3:4], v3
	v_or_b32_e32 v6, 4, v5
	s_waitcnt lgkmcnt(0)
	ds_bpermute_b32 v5, v6, v3
	ds_bpermute_b32 v6, v6, v4
	s_waitcnt lgkmcnt(0)
	v_add_f64 v[3:4], v[3:4], v[5:6]
.LBB17_5:
	s_or_b64 exec, exec, s[2:3]
	s_branch .LBB17_150
.LBB17_6:
                                        ; implicit-def: $vgpr3_vgpr4
	s_cbranch_execz .LBB17_150
; %bb.7:
	v_readlane_b32 s8, v132, 2
	s_sub_i32 s33, s8, s0
	v_cmp_gt_u32_e32 vcc, s33, v0
	v_readlane_b32 s9, v132, 3
	v_readlane_b32 s10, v132, 4
	;; [unrolled: 1-line block ×3, first 2 shown]
                                        ; implicit-def: $vgpr3_vgpr4
	s_and_saveexec_b64 s[0:1], vcc
	s_cbranch_execz .LBB17_9
; %bb.8:
	global_load_dwordx2 v[3:4], v[1:2], off
	s_waitcnt vmcnt(0)
	v_and_b32_e32 v4, 0x7fffffff, v4
.LBB17_9:
	s_or_b64 exec, exec, s[0:1]
	v_or_b32_e32 v5, 0x80, v0
	v_cmp_gt_u32_e64 s[2:3], s33, v5
                                        ; implicit-def: $vgpr5_vgpr6
	s_mov_b64 s[0:1], exec
	v_writelane_b32 v132, s2, 6
	v_writelane_b32 v132, s3, 7
	s_and_b64 s[2:3], s[0:1], s[2:3]
	s_mov_b64 exec, s[2:3]
	s_cbranch_execz .LBB17_11
; %bb.10:
	global_load_dwordx2 v[5:6], v[1:2], off offset:1024
	s_waitcnt vmcnt(0)
	v_and_b32_e32 v6, 0x7fffffff, v6
.LBB17_11:
	s_or_b64 exec, exec, s[0:1]
	v_or_b32_e32 v7, 0x100, v0
	v_cmp_gt_u32_e64 s[2:3], s33, v7
                                        ; implicit-def: $vgpr7_vgpr8
	s_mov_b64 s[0:1], exec
	v_writelane_b32 v132, s2, 8
	v_writelane_b32 v132, s3, 9
	s_and_b64 s[2:3], s[0:1], s[2:3]
	s_mov_b64 exec, s[2:3]
	s_cbranch_execz .LBB17_13
; %bb.12:
	global_load_dwordx2 v[7:8], v[1:2], off offset:2048
	s_waitcnt vmcnt(0)
	v_and_b32_e32 v8, 0x7fffffff, v8
.LBB17_13:
	s_or_b64 exec, exec, s[0:1]
	v_or_b32_e32 v9, 0x180, v0
	v_cmp_gt_u32_e64 s[2:3], s33, v9
                                        ; implicit-def: $vgpr9_vgpr10
	s_mov_b64 s[0:1], exec
	v_writelane_b32 v132, s2, 10
	v_writelane_b32 v132, s3, 11
	s_and_b64 s[2:3], s[0:1], s[2:3]
	s_mov_b64 exec, s[2:3]
	s_cbranch_execz .LBB17_15
; %bb.14:
	global_load_dwordx2 v[9:10], v[1:2], off offset:3072
	s_waitcnt vmcnt(0)
	v_and_b32_e32 v10, 0x7fffffff, v10
.LBB17_15:
	s_or_b64 exec, exec, s[0:1]
	v_or_b32_e32 v11, 0x200, v0
	v_cmp_gt_u32_e64 s[2:3], s33, v11
                                        ; implicit-def: $vgpr11_vgpr12
	s_mov_b64 s[0:1], exec
	v_writelane_b32 v132, s2, 12
	v_writelane_b32 v132, s3, 13
	s_and_b64 s[2:3], s[0:1], s[2:3]
	s_mov_b64 exec, s[2:3]
	s_cbranch_execz .LBB17_17
; %bb.16:
	v_add_co_u32_e32 v11, vcc, 0x1000, v1
	v_addc_co_u32_e32 v12, vcc, 0, v2, vcc
	global_load_dwordx2 v[11:12], v[11:12], off
	s_waitcnt vmcnt(0)
	v_and_b32_e32 v12, 0x7fffffff, v12
.LBB17_17:
	s_or_b64 exec, exec, s[0:1]
	v_or_b32_e32 v13, 0x280, v0
	v_cmp_gt_u32_e64 s[2:3], s33, v13
                                        ; implicit-def: $vgpr13_vgpr14
	s_mov_b64 s[0:1], exec
	v_writelane_b32 v132, s2, 14
	v_writelane_b32 v132, s3, 15
	s_and_b64 s[2:3], s[0:1], s[2:3]
	s_mov_b64 exec, s[2:3]
	s_cbranch_execz .LBB17_19
; %bb.18:
	v_add_co_u32_e32 v13, vcc, 0x1000, v1
	v_addc_co_u32_e32 v14, vcc, 0, v2, vcc
	global_load_dwordx2 v[13:14], v[13:14], off offset:1024
	s_waitcnt vmcnt(0)
	v_and_b32_e32 v14, 0x7fffffff, v14
.LBB17_19:
	s_or_b64 exec, exec, s[0:1]
	v_or_b32_e32 v15, 0x300, v0
	v_cmp_gt_u32_e64 s[2:3], s33, v15
                                        ; implicit-def: $vgpr15_vgpr16
	s_mov_b64 s[0:1], exec
	v_writelane_b32 v132, s2, 16
	v_writelane_b32 v132, s3, 17
	s_and_b64 s[2:3], s[0:1], s[2:3]
	s_mov_b64 exec, s[2:3]
	s_cbranch_execz .LBB17_21
; %bb.20:
	v_add_co_u32_e32 v15, vcc, 0x1000, v1
	v_addc_co_u32_e32 v16, vcc, 0, v2, vcc
	global_load_dwordx2 v[15:16], v[15:16], off offset:2048
	s_waitcnt vmcnt(0)
	v_and_b32_e32 v16, 0x7fffffff, v16
.LBB17_21:
	s_or_b64 exec, exec, s[0:1]
	v_or_b32_e32 v17, 0x380, v0
	v_cmp_gt_u32_e64 s[2:3], s33, v17
                                        ; implicit-def: $vgpr17_vgpr18
	s_mov_b64 s[0:1], exec
	v_writelane_b32 v132, s2, 18
	v_writelane_b32 v132, s3, 19
	s_and_b64 s[2:3], s[0:1], s[2:3]
	s_mov_b64 exec, s[2:3]
	s_cbranch_execz .LBB17_23
; %bb.22:
	v_add_co_u32_e32 v17, vcc, 0x1000, v1
	v_addc_co_u32_e32 v18, vcc, 0, v2, vcc
	global_load_dwordx2 v[17:18], v[17:18], off offset:3072
	s_waitcnt vmcnt(0)
	v_and_b32_e32 v18, 0x7fffffff, v18
.LBB17_23:
	s_or_b64 exec, exec, s[0:1]
	v_or_b32_e32 v19, 0x400, v0
	v_cmp_gt_u32_e64 s[2:3], s33, v19
                                        ; implicit-def: $vgpr19_vgpr20
	s_mov_b64 s[0:1], exec
	v_writelane_b32 v132, s2, 20
	v_writelane_b32 v132, s3, 21
	s_and_b64 s[2:3], s[0:1], s[2:3]
	s_mov_b64 exec, s[2:3]
	s_cbranch_execz .LBB17_25
; %bb.24:
	v_add_co_u32_e32 v19, vcc, 0x2000, v1
	v_addc_co_u32_e32 v20, vcc, 0, v2, vcc
	global_load_dwordx2 v[19:20], v[19:20], off
	s_waitcnt vmcnt(0)
	v_and_b32_e32 v20, 0x7fffffff, v20
.LBB17_25:
	s_or_b64 exec, exec, s[0:1]
	v_or_b32_e32 v21, 0x480, v0
	v_cmp_gt_u32_e64 s[2:3], s33, v21
                                        ; implicit-def: $vgpr21_vgpr22
	s_mov_b64 s[0:1], exec
	v_writelane_b32 v132, s2, 22
	v_writelane_b32 v132, s3, 23
	s_and_b64 s[2:3], s[0:1], s[2:3]
	s_mov_b64 exec, s[2:3]
	s_cbranch_execz .LBB17_27
; %bb.26:
	v_add_co_u32_e32 v21, vcc, 0x2000, v1
	v_addc_co_u32_e32 v22, vcc, 0, v2, vcc
	global_load_dwordx2 v[21:22], v[21:22], off offset:1024
	s_waitcnt vmcnt(0)
	v_and_b32_e32 v22, 0x7fffffff, v22
.LBB17_27:
	s_or_b64 exec, exec, s[0:1]
	v_or_b32_e32 v23, 0x500, v0
	v_cmp_gt_u32_e64 s[2:3], s33, v23
                                        ; implicit-def: $vgpr23_vgpr24
	s_mov_b64 s[0:1], exec
	v_writelane_b32 v132, s2, 24
	v_writelane_b32 v132, s3, 25
	s_and_b64 s[2:3], s[0:1], s[2:3]
	s_mov_b64 exec, s[2:3]
	s_cbranch_execz .LBB17_29
; %bb.28:
	v_add_co_u32_e32 v23, vcc, 0x2000, v1
	v_addc_co_u32_e32 v24, vcc, 0, v2, vcc
	global_load_dwordx2 v[23:24], v[23:24], off offset:2048
	s_waitcnt vmcnt(0)
	v_and_b32_e32 v24, 0x7fffffff, v24
.LBB17_29:
	s_or_b64 exec, exec, s[0:1]
	v_or_b32_e32 v25, 0x580, v0
	v_cmp_gt_u32_e64 s[2:3], s33, v25
                                        ; implicit-def: $vgpr25_vgpr26
	s_mov_b64 s[0:1], exec
	v_writelane_b32 v132, s2, 26
	v_writelane_b32 v132, s3, 27
	s_and_b64 s[2:3], s[0:1], s[2:3]
	s_mov_b64 exec, s[2:3]
	s_cbranch_execz .LBB17_31
; %bb.30:
	v_add_co_u32_e32 v25, vcc, 0x2000, v1
	v_addc_co_u32_e32 v26, vcc, 0, v2, vcc
	global_load_dwordx2 v[25:26], v[25:26], off offset:3072
	s_waitcnt vmcnt(0)
	v_and_b32_e32 v26, 0x7fffffff, v26
.LBB17_31:
	s_or_b64 exec, exec, s[0:1]
	v_or_b32_e32 v27, 0x600, v0
	v_cmp_gt_u32_e64 s[2:3], s33, v27
                                        ; implicit-def: $vgpr27_vgpr28
	s_mov_b64 s[0:1], exec
	v_writelane_b32 v132, s2, 28
	v_writelane_b32 v132, s3, 29
	s_and_b64 s[2:3], s[0:1], s[2:3]
	s_mov_b64 exec, s[2:3]
	s_cbranch_execz .LBB17_33
; %bb.32:
	v_add_co_u32_e32 v27, vcc, 0x3000, v1
	v_addc_co_u32_e32 v28, vcc, 0, v2, vcc
	global_load_dwordx2 v[27:28], v[27:28], off
	s_waitcnt vmcnt(0)
	v_and_b32_e32 v28, 0x7fffffff, v28
.LBB17_33:
	s_or_b64 exec, exec, s[0:1]
	v_or_b32_e32 v29, 0x680, v0
	v_cmp_gt_u32_e64 s[2:3], s33, v29
                                        ; implicit-def: $vgpr29_vgpr30
	s_mov_b64 s[0:1], exec
	v_writelane_b32 v132, s2, 30
	v_writelane_b32 v132, s3, 31
	s_and_b64 s[2:3], s[0:1], s[2:3]
	s_mov_b64 exec, s[2:3]
	s_cbranch_execz .LBB17_35
; %bb.34:
	v_add_co_u32_e32 v29, vcc, 0x3000, v1
	v_addc_co_u32_e32 v30, vcc, 0, v2, vcc
	global_load_dwordx2 v[29:30], v[29:30], off offset:1024
	s_waitcnt vmcnt(0)
	v_and_b32_e32 v30, 0x7fffffff, v30
.LBB17_35:
	s_or_b64 exec, exec, s[0:1]
	v_or_b32_e32 v31, 0x700, v0
	v_cmp_gt_u32_e64 s[2:3], s33, v31
                                        ; implicit-def: $vgpr31_vgpr32
	s_mov_b64 s[0:1], exec
	v_writelane_b32 v132, s2, 32
	v_writelane_b32 v132, s3, 33
	s_and_b64 s[2:3], s[0:1], s[2:3]
	s_mov_b64 exec, s[2:3]
	s_cbranch_execz .LBB17_37
; %bb.36:
	v_add_co_u32_e32 v31, vcc, 0x3000, v1
	v_addc_co_u32_e32 v32, vcc, 0, v2, vcc
	global_load_dwordx2 v[31:32], v[31:32], off offset:2048
	s_waitcnt vmcnt(0)
	v_and_b32_e32 v32, 0x7fffffff, v32
.LBB17_37:
	s_or_b64 exec, exec, s[0:1]
	v_or_b32_e32 v33, 0x780, v0
	v_cmp_gt_u32_e64 s[2:3], s33, v33
                                        ; implicit-def: $vgpr33_vgpr34
	s_mov_b64 s[0:1], exec
	v_writelane_b32 v132, s2, 34
	v_writelane_b32 v132, s3, 35
	s_and_b64 s[2:3], s[0:1], s[2:3]
	s_mov_b64 exec, s[2:3]
	s_cbranch_execz .LBB17_39
; %bb.38:
	v_add_co_u32_e32 v33, vcc, 0x3000, v1
	v_addc_co_u32_e32 v34, vcc, 0, v2, vcc
	global_load_dwordx2 v[33:34], v[33:34], off offset:3072
	s_waitcnt vmcnt(0)
	v_and_b32_e32 v34, 0x7fffffff, v34
.LBB17_39:
	s_or_b64 exec, exec, s[0:1]
	v_or_b32_e32 v35, 0x800, v0
	v_cmp_gt_u32_e64 s[2:3], s33, v35
                                        ; implicit-def: $vgpr35_vgpr36
	s_mov_b64 s[0:1], exec
	v_writelane_b32 v132, s2, 36
	v_writelane_b32 v132, s3, 37
	s_and_b64 s[2:3], s[0:1], s[2:3]
	s_mov_b64 exec, s[2:3]
	s_cbranch_execz .LBB17_41
; %bb.40:
	v_add_co_u32_e32 v35, vcc, 0x4000, v1
	v_addc_co_u32_e32 v36, vcc, 0, v2, vcc
	global_load_dwordx2 v[35:36], v[35:36], off
	s_waitcnt vmcnt(0)
	v_and_b32_e32 v36, 0x7fffffff, v36
.LBB17_41:
	s_or_b64 exec, exec, s[0:1]
	v_or_b32_e32 v37, 0x880, v0
	v_cmp_gt_u32_e64 s[2:3], s33, v37
                                        ; implicit-def: $vgpr37_vgpr38
	s_mov_b64 s[0:1], exec
	v_writelane_b32 v132, s2, 38
	v_writelane_b32 v132, s3, 39
	s_and_b64 s[2:3], s[0:1], s[2:3]
	s_mov_b64 exec, s[2:3]
	s_cbranch_execz .LBB17_43
; %bb.42:
	v_add_co_u32_e32 v37, vcc, 0x4000, v1
	v_addc_co_u32_e32 v38, vcc, 0, v2, vcc
	global_load_dwordx2 v[37:38], v[37:38], off offset:1024
	s_waitcnt vmcnt(0)
	v_and_b32_e32 v38, 0x7fffffff, v38
.LBB17_43:
	s_or_b64 exec, exec, s[0:1]
	v_or_b32_e32 v39, 0x900, v0
	v_cmp_gt_u32_e64 s[2:3], s33, v39
                                        ; implicit-def: $vgpr39_vgpr40
	s_mov_b64 s[0:1], exec
	v_writelane_b32 v132, s2, 40
	v_writelane_b32 v132, s3, 41
	s_and_b64 s[2:3], s[0:1], s[2:3]
	s_mov_b64 exec, s[2:3]
	s_cbranch_execz .LBB17_45
; %bb.44:
	v_add_co_u32_e32 v39, vcc, 0x4000, v1
	v_addc_co_u32_e32 v40, vcc, 0, v2, vcc
	global_load_dwordx2 v[39:40], v[39:40], off offset:2048
	s_waitcnt vmcnt(0)
	v_and_b32_e32 v40, 0x7fffffff, v40
.LBB17_45:
	s_or_b64 exec, exec, s[0:1]
	v_or_b32_e32 v41, 0x980, v0
	v_cmp_gt_u32_e64 s[40:41], s33, v41
                                        ; implicit-def: $vgpr41_vgpr42
	s_and_saveexec_b64 s[0:1], s[40:41]
	s_cbranch_execz .LBB17_47
; %bb.46:
	v_add_co_u32_e32 v41, vcc, 0x4000, v1
	v_addc_co_u32_e32 v42, vcc, 0, v2, vcc
	global_load_dwordx2 v[41:42], v[41:42], off offset:3072
	s_waitcnt vmcnt(0)
	v_and_b32_e32 v42, 0x7fffffff, v42
.LBB17_47:
	s_or_b64 exec, exec, s[0:1]
	v_or_b32_e32 v43, 0xa00, v0
	v_cmp_gt_u32_e64 s[42:43], s33, v43
                                        ; implicit-def: $vgpr43_vgpr44
	s_and_saveexec_b64 s[0:1], s[42:43]
	s_cbranch_execz .LBB17_49
; %bb.48:
	v_add_co_u32_e32 v43, vcc, 0x5000, v1
	v_addc_co_u32_e32 v44, vcc, 0, v2, vcc
	global_load_dwordx2 v[43:44], v[43:44], off
	s_waitcnt vmcnt(0)
	v_and_b32_e32 v44, 0x7fffffff, v44
.LBB17_49:
	s_or_b64 exec, exec, s[0:1]
	v_or_b32_e32 v45, 0xa80, v0
	v_cmp_gt_u32_e64 s[44:45], s33, v45
                                        ; implicit-def: $vgpr45_vgpr46
	s_and_saveexec_b64 s[0:1], s[44:45]
	s_cbranch_execz .LBB17_51
; %bb.50:
	v_add_co_u32_e32 v45, vcc, 0x5000, v1
	v_addc_co_u32_e32 v46, vcc, 0, v2, vcc
	global_load_dwordx2 v[45:46], v[45:46], off offset:1024
	s_waitcnt vmcnt(0)
	v_and_b32_e32 v46, 0x7fffffff, v46
.LBB17_51:
	s_or_b64 exec, exec, s[0:1]
	v_or_b32_e32 v47, 0xb00, v0
	v_cmp_gt_u32_e64 s[46:47], s33, v47
                                        ; implicit-def: $vgpr47_vgpr48
	s_and_saveexec_b64 s[0:1], s[46:47]
	s_cbranch_execz .LBB17_53
; %bb.52:
	v_add_co_u32_e32 v47, vcc, 0x5000, v1
	v_addc_co_u32_e32 v48, vcc, 0, v2, vcc
	global_load_dwordx2 v[47:48], v[47:48], off offset:2048
	s_waitcnt vmcnt(0)
	v_and_b32_e32 v48, 0x7fffffff, v48
.LBB17_53:
	s_or_b64 exec, exec, s[0:1]
	v_or_b32_e32 v49, 0xb80, v0
	v_cmp_gt_u32_e64 s[48:49], s33, v49
                                        ; implicit-def: $vgpr49_vgpr50
	s_and_saveexec_b64 s[0:1], s[48:49]
	s_cbranch_execz .LBB17_55
; %bb.54:
	v_add_co_u32_e32 v49, vcc, 0x5000, v1
	v_addc_co_u32_e32 v50, vcc, 0, v2, vcc
	global_load_dwordx2 v[49:50], v[49:50], off offset:3072
	s_waitcnt vmcnt(0)
	v_and_b32_e32 v50, 0x7fffffff, v50
.LBB17_55:
	s_or_b64 exec, exec, s[0:1]
	v_or_b32_e32 v51, 0xc00, v0
	v_cmp_gt_u32_e64 s[50:51], s33, v51
                                        ; implicit-def: $vgpr51_vgpr52
	s_and_saveexec_b64 s[0:1], s[50:51]
	s_cbranch_execz .LBB17_57
; %bb.56:
	v_add_co_u32_e32 v51, vcc, 0x6000, v1
	v_addc_co_u32_e32 v52, vcc, 0, v2, vcc
	global_load_dwordx2 v[51:52], v[51:52], off
	s_waitcnt vmcnt(0)
	v_and_b32_e32 v52, 0x7fffffff, v52
.LBB17_57:
	s_or_b64 exec, exec, s[0:1]
	v_or_b32_e32 v53, 0xc80, v0
	v_cmp_gt_u32_e64 s[52:53], s33, v53
                                        ; implicit-def: $vgpr53_vgpr54
	s_and_saveexec_b64 s[0:1], s[52:53]
	s_cbranch_execz .LBB17_59
; %bb.58:
	v_add_co_u32_e32 v53, vcc, 0x6000, v1
	v_addc_co_u32_e32 v54, vcc, 0, v2, vcc
	global_load_dwordx2 v[53:54], v[53:54], off offset:1024
	s_waitcnt vmcnt(0)
	v_and_b32_e32 v54, 0x7fffffff, v54
.LBB17_59:
	s_or_b64 exec, exec, s[0:1]
	v_or_b32_e32 v55, 0xd00, v0
	v_cmp_gt_u32_e64 s[54:55], s33, v55
                                        ; implicit-def: $vgpr55_vgpr56
	s_and_saveexec_b64 s[0:1], s[54:55]
	s_cbranch_execz .LBB17_61
; %bb.60:
	v_add_co_u32_e32 v55, vcc, 0x6000, v1
	v_addc_co_u32_e32 v56, vcc, 0, v2, vcc
	global_load_dwordx2 v[55:56], v[55:56], off offset:2048
	s_waitcnt vmcnt(0)
	v_and_b32_e32 v56, 0x7fffffff, v56
.LBB17_61:
	s_or_b64 exec, exec, s[0:1]
	v_or_b32_e32 v57, 0xd80, v0
	v_cmp_gt_u32_e64 s[56:57], s33, v57
                                        ; implicit-def: $vgpr57_vgpr58
	s_and_saveexec_b64 s[0:1], s[56:57]
	s_cbranch_execz .LBB17_63
; %bb.62:
	v_add_co_u32_e32 v57, vcc, 0x6000, v1
	v_addc_co_u32_e32 v58, vcc, 0, v2, vcc
	global_load_dwordx2 v[57:58], v[57:58], off offset:3072
	s_waitcnt vmcnt(0)
	v_and_b32_e32 v58, 0x7fffffff, v58
.LBB17_63:
	s_or_b64 exec, exec, s[0:1]
	v_or_b32_e32 v59, 0xe00, v0
	v_cmp_gt_u32_e64 s[58:59], s33, v59
                                        ; implicit-def: $vgpr59_vgpr60
	s_and_saveexec_b64 s[0:1], s[58:59]
	s_cbranch_execz .LBB17_65
; %bb.64:
	v_add_co_u32_e32 v59, vcc, 0x7000, v1
	v_addc_co_u32_e32 v60, vcc, 0, v2, vcc
	global_load_dwordx2 v[59:60], v[59:60], off
	s_waitcnt vmcnt(0)
	v_and_b32_e32 v60, 0x7fffffff, v60
.LBB17_65:
	s_or_b64 exec, exec, s[0:1]
	v_or_b32_e32 v61, 0xe80, v0
	v_cmp_gt_u32_e64 s[60:61], s33, v61
                                        ; implicit-def: $vgpr61_vgpr62
	s_and_saveexec_b64 s[0:1], s[60:61]
	s_cbranch_execz .LBB17_67
; %bb.66:
	v_add_co_u32_e32 v61, vcc, 0x7000, v1
	v_addc_co_u32_e32 v62, vcc, 0, v2, vcc
	global_load_dwordx2 v[61:62], v[61:62], off offset:1024
	s_waitcnt vmcnt(0)
	v_and_b32_e32 v62, 0x7fffffff, v62
.LBB17_67:
	s_or_b64 exec, exec, s[0:1]
	v_or_b32_e32 v63, 0xf00, v0
	v_cmp_gt_u32_e64 s[62:63], s33, v63
                                        ; implicit-def: $vgpr63_vgpr64
	s_and_saveexec_b64 s[0:1], s[62:63]
	s_cbranch_execz .LBB17_69
; %bb.68:
	v_add_co_u32_e32 v63, vcc, 0x7000, v1
	v_addc_co_u32_e32 v64, vcc, 0, v2, vcc
	global_load_dwordx2 v[63:64], v[63:64], off offset:2048
	s_waitcnt vmcnt(0)
	v_and_b32_e32 v64, 0x7fffffff, v64
.LBB17_69:
	s_or_b64 exec, exec, s[0:1]
	v_or_b32_e32 v65, 0xf80, v0
	v_cmp_gt_u32_e64 s[64:65], s33, v65
                                        ; implicit-def: $vgpr65_vgpr66
	s_and_saveexec_b64 s[0:1], s[64:65]
	s_cbranch_execz .LBB17_71
; %bb.70:
	v_add_co_u32_e32 v65, vcc, 0x7000, v1
	v_addc_co_u32_e32 v66, vcc, 0, v2, vcc
	global_load_dwordx2 v[65:66], v[65:66], off offset:3072
	s_waitcnt vmcnt(0)
	v_and_b32_e32 v66, 0x7fffffff, v66
.LBB17_71:
	s_or_b64 exec, exec, s[0:1]
	v_or_b32_e32 v67, 0x1000, v0
	v_cmp_gt_u32_e64 s[66:67], s33, v67
                                        ; implicit-def: $vgpr67_vgpr68
	s_and_saveexec_b64 s[0:1], s[66:67]
	s_cbranch_execz .LBB17_73
; %bb.72:
	v_add_co_u32_e32 v67, vcc, 0x8000, v1
	v_addc_co_u32_e32 v68, vcc, 0, v2, vcc
	global_load_dwordx2 v[67:68], v[67:68], off
	s_waitcnt vmcnt(0)
	v_and_b32_e32 v68, 0x7fffffff, v68
.LBB17_73:
	s_or_b64 exec, exec, s[0:1]
	v_or_b32_e32 v69, 0x1080, v0
	v_cmp_gt_u32_e64 s[68:69], s33, v69
                                        ; implicit-def: $vgpr69_vgpr70
	s_and_saveexec_b64 s[0:1], s[68:69]
	s_cbranch_execz .LBB17_75
; %bb.74:
	v_add_co_u32_e32 v69, vcc, 0x8000, v1
	v_addc_co_u32_e32 v70, vcc, 0, v2, vcc
	global_load_dwordx2 v[69:70], v[69:70], off offset:1024
	s_waitcnt vmcnt(0)
	v_and_b32_e32 v70, 0x7fffffff, v70
.LBB17_75:
	s_or_b64 exec, exec, s[0:1]
	v_or_b32_e32 v71, 0x1100, v0
	v_cmp_gt_u32_e64 s[70:71], s33, v71
                                        ; implicit-def: $vgpr71_vgpr72
	s_and_saveexec_b64 s[0:1], s[70:71]
	s_cbranch_execz .LBB17_77
; %bb.76:
	v_add_co_u32_e32 v71, vcc, 0x8000, v1
	v_addc_co_u32_e32 v72, vcc, 0, v2, vcc
	global_load_dwordx2 v[71:72], v[71:72], off offset:2048
	s_waitcnt vmcnt(0)
	v_and_b32_e32 v72, 0x7fffffff, v72
.LBB17_77:
	s_or_b64 exec, exec, s[0:1]
	v_or_b32_e32 v73, 0x1180, v0
	v_cmp_gt_u32_e64 s[72:73], s33, v73
                                        ; implicit-def: $vgpr73_vgpr74
	s_and_saveexec_b64 s[0:1], s[72:73]
	s_cbranch_execz .LBB17_79
; %bb.78:
	v_add_co_u32_e32 v73, vcc, 0x8000, v1
	v_addc_co_u32_e32 v74, vcc, 0, v2, vcc
	global_load_dwordx2 v[73:74], v[73:74], off offset:3072
	s_waitcnt vmcnt(0)
	v_and_b32_e32 v74, 0x7fffffff, v74
.LBB17_79:
	s_or_b64 exec, exec, s[0:1]
	v_or_b32_e32 v75, 0x1200, v0
	v_cmp_gt_u32_e64 s[74:75], s33, v75
                                        ; implicit-def: $vgpr75_vgpr76
	s_and_saveexec_b64 s[0:1], s[74:75]
	s_cbranch_execz .LBB17_81
; %bb.80:
	v_add_co_u32_e32 v75, vcc, 0x9000, v1
	v_addc_co_u32_e32 v76, vcc, 0, v2, vcc
	global_load_dwordx2 v[75:76], v[75:76], off
	s_waitcnt vmcnt(0)
	v_and_b32_e32 v76, 0x7fffffff, v76
.LBB17_81:
	s_or_b64 exec, exec, s[0:1]
	v_or_b32_e32 v77, 0x1280, v0
	v_cmp_gt_u32_e64 s[76:77], s33, v77
                                        ; implicit-def: $vgpr77_vgpr78
	s_and_saveexec_b64 s[0:1], s[76:77]
	s_cbranch_execz .LBB17_83
; %bb.82:
	v_add_co_u32_e32 v77, vcc, 0x9000, v1
	v_addc_co_u32_e32 v78, vcc, 0, v2, vcc
	global_load_dwordx2 v[77:78], v[77:78], off offset:1024
	s_waitcnt vmcnt(0)
	v_and_b32_e32 v78, 0x7fffffff, v78
.LBB17_83:
	s_or_b64 exec, exec, s[0:1]
	v_or_b32_e32 v79, 0x1300, v0
	v_cmp_gt_u32_e64 s[78:79], s33, v79
                                        ; implicit-def: $vgpr79_vgpr80
	s_and_saveexec_b64 s[0:1], s[78:79]
	s_cbranch_execz .LBB17_85
; %bb.84:
	v_add_co_u32_e32 v79, vcc, 0x9000, v1
	v_addc_co_u32_e32 v80, vcc, 0, v2, vcc
	global_load_dwordx2 v[79:80], v[79:80], off offset:2048
	s_waitcnt vmcnt(0)
	v_and_b32_e32 v80, 0x7fffffff, v80
.LBB17_85:
	s_or_b64 exec, exec, s[0:1]
	v_or_b32_e32 v81, 0x1380, v0
	v_cmp_gt_u32_e64 s[80:81], s33, v81
                                        ; implicit-def: $vgpr81_vgpr82
	s_and_saveexec_b64 s[0:1], s[80:81]
	s_cbranch_execz .LBB17_87
; %bb.86:
	v_add_co_u32_e32 v81, vcc, 0x9000, v1
	v_addc_co_u32_e32 v82, vcc, 0, v2, vcc
	global_load_dwordx2 v[81:82], v[81:82], off offset:3072
	s_waitcnt vmcnt(0)
	v_and_b32_e32 v82, 0x7fffffff, v82
.LBB17_87:
	s_or_b64 exec, exec, s[0:1]
	v_or_b32_e32 v83, 0x1400, v0
	v_cmp_gt_u32_e64 s[82:83], s33, v83
                                        ; implicit-def: $vgpr83_vgpr84
	s_and_saveexec_b64 s[0:1], s[82:83]
	s_cbranch_execz .LBB17_89
; %bb.88:
	v_add_co_u32_e32 v83, vcc, 0xa000, v1
	v_addc_co_u32_e32 v84, vcc, 0, v2, vcc
	global_load_dwordx2 v[83:84], v[83:84], off
	s_waitcnt vmcnt(0)
	v_and_b32_e32 v84, 0x7fffffff, v84
.LBB17_89:
	s_or_b64 exec, exec, s[0:1]
	v_or_b32_e32 v85, 0x1480, v0
	v_cmp_gt_u32_e64 s[84:85], s33, v85
                                        ; implicit-def: $vgpr85_vgpr86
	s_and_saveexec_b64 s[0:1], s[84:85]
	s_cbranch_execz .LBB17_91
; %bb.90:
	v_add_co_u32_e32 v85, vcc, 0xa000, v1
	v_addc_co_u32_e32 v86, vcc, 0, v2, vcc
	global_load_dwordx2 v[85:86], v[85:86], off offset:1024
	s_waitcnt vmcnt(0)
	v_and_b32_e32 v86, 0x7fffffff, v86
.LBB17_91:
	s_or_b64 exec, exec, s[0:1]
	v_or_b32_e32 v87, 0x1500, v0
	v_cmp_gt_u32_e64 s[86:87], s33, v87
                                        ; implicit-def: $vgpr87_vgpr88
	s_and_saveexec_b64 s[0:1], s[86:87]
	s_cbranch_execz .LBB17_93
; %bb.92:
	v_add_co_u32_e32 v87, vcc, 0xa000, v1
	v_addc_co_u32_e32 v88, vcc, 0, v2, vcc
	global_load_dwordx2 v[87:88], v[87:88], off offset:2048
	s_waitcnt vmcnt(0)
	v_and_b32_e32 v88, 0x7fffffff, v88
.LBB17_93:
	s_or_b64 exec, exec, s[0:1]
	v_or_b32_e32 v89, 0x1580, v0
	v_cmp_gt_u32_e64 s[88:89], s33, v89
                                        ; implicit-def: $vgpr89_vgpr90
	s_and_saveexec_b64 s[0:1], s[88:89]
	s_cbranch_execz .LBB17_95
; %bb.94:
	v_add_co_u32_e32 v89, vcc, 0xa000, v1
	v_addc_co_u32_e32 v90, vcc, 0, v2, vcc
	global_load_dwordx2 v[89:90], v[89:90], off offset:3072
	s_waitcnt vmcnt(0)
	v_and_b32_e32 v90, 0x7fffffff, v90
.LBB17_95:
	s_or_b64 exec, exec, s[0:1]
	v_or_b32_e32 v91, 0x1600, v0
	v_cmp_gt_u32_e64 s[90:91], s33, v91
                                        ; implicit-def: $vgpr91_vgpr92
	s_and_saveexec_b64 s[0:1], s[90:91]
	s_cbranch_execz .LBB17_97
; %bb.96:
	v_add_co_u32_e32 v91, vcc, 0xb000, v1
	v_addc_co_u32_e32 v92, vcc, 0, v2, vcc
	global_load_dwordx2 v[91:92], v[91:92], off
	s_waitcnt vmcnt(0)
	v_and_b32_e32 v92, 0x7fffffff, v92
.LBB17_97:
	s_or_b64 exec, exec, s[0:1]
	v_or_b32_e32 v93, 0x1680, v0
	v_cmp_gt_u32_e64 s[92:93], s33, v93
                                        ; implicit-def: $vgpr93_vgpr94
	s_and_saveexec_b64 s[0:1], s[92:93]
	s_cbranch_execz .LBB17_99
; %bb.98:
	v_add_co_u32_e32 v93, vcc, 0xb000, v1
	v_addc_co_u32_e32 v94, vcc, 0, v2, vcc
	global_load_dwordx2 v[93:94], v[93:94], off offset:1024
	s_waitcnt vmcnt(0)
	v_and_b32_e32 v94, 0x7fffffff, v94
.LBB17_99:
	s_or_b64 exec, exec, s[0:1]
	v_or_b32_e32 v95, 0x1700, v0
	v_cmp_gt_u32_e64 s[94:95], s33, v95
                                        ; implicit-def: $vgpr95_vgpr96
	s_and_saveexec_b64 s[0:1], s[94:95]
	s_cbranch_execz .LBB17_101
; %bb.100:
	v_add_co_u32_e32 v95, vcc, 0xb000, v1
	v_addc_co_u32_e32 v96, vcc, 0, v2, vcc
	global_load_dwordx2 v[95:96], v[95:96], off offset:2048
	s_waitcnt vmcnt(0)
	v_and_b32_e32 v96, 0x7fffffff, v96
.LBB17_101:
	s_or_b64 exec, exec, s[0:1]
	v_or_b32_e32 v97, 0x1780, v0
	v_cmp_gt_u32_e64 s[0:1], s33, v97
                                        ; implicit-def: $vgpr97_vgpr98
	s_and_saveexec_b64 s[2:3], s[0:1]
	s_cbranch_execz .LBB17_103
; %bb.102:
	v_add_co_u32_e32 v97, vcc, 0xb000, v1
	v_addc_co_u32_e32 v98, vcc, 0, v2, vcc
	global_load_dwordx2 v[97:98], v[97:98], off offset:3072
	s_waitcnt vmcnt(0)
	v_and_b32_e32 v98, 0x7fffffff, v98
.LBB17_103:
	s_or_b64 exec, exec, s[2:3]
	v_or_b32_e32 v99, 0x1800, v0
	v_cmp_gt_u32_e64 s[2:3], s33, v99
                                        ; implicit-def: $vgpr99_vgpr100
	s_and_saveexec_b64 s[4:5], s[2:3]
	s_cbranch_execz .LBB17_105
; %bb.104:
	v_add_co_u32_e32 v99, vcc, 0xc000, v1
	v_addc_co_u32_e32 v100, vcc, 0, v2, vcc
	global_load_dwordx2 v[99:100], v[99:100], off
	s_waitcnt vmcnt(0)
	v_and_b32_e32 v100, 0x7fffffff, v100
.LBB17_105:
	s_or_b64 exec, exec, s[4:5]
	v_or_b32_e32 v101, 0x1880, v0
	v_cmp_gt_u32_e64 s[4:5], s33, v101
                                        ; implicit-def: $vgpr101_vgpr102
	s_and_saveexec_b64 s[8:9], s[4:5]
	s_cbranch_execz .LBB17_107
; %bb.106:
	v_add_co_u32_e32 v101, vcc, 0xc000, v1
	v_addc_co_u32_e32 v102, vcc, 0, v2, vcc
	global_load_dwordx2 v[101:102], v[101:102], off offset:1024
	s_waitcnt vmcnt(0)
	v_and_b32_e32 v102, 0x7fffffff, v102
.LBB17_107:
	s_or_b64 exec, exec, s[8:9]
	v_or_b32_e32 v103, 0x1900, v0
	v_cmp_gt_u32_e64 s[8:9], s33, v103
                                        ; implicit-def: $vgpr103_vgpr104
	s_and_saveexec_b64 s[10:11], s[8:9]
	s_cbranch_execz .LBB17_109
; %bb.108:
	v_add_co_u32_e32 v103, vcc, 0xc000, v1
	v_addc_co_u32_e32 v104, vcc, 0, v2, vcc
	global_load_dwordx2 v[103:104], v[103:104], off offset:2048
	s_waitcnt vmcnt(0)
	v_and_b32_e32 v104, 0x7fffffff, v104
.LBB17_109:
	s_or_b64 exec, exec, s[10:11]
	v_or_b32_e32 v105, 0x1980, v0
	v_cmp_gt_u32_e64 s[10:11], s33, v105
                                        ; implicit-def: $vgpr105_vgpr106
	s_and_saveexec_b64 s[12:13], s[10:11]
	s_cbranch_execz .LBB17_111
; %bb.110:
	v_add_co_u32_e32 v105, vcc, 0xc000, v1
	v_addc_co_u32_e32 v106, vcc, 0, v2, vcc
	global_load_dwordx2 v[105:106], v[105:106], off offset:3072
	s_waitcnt vmcnt(0)
	v_and_b32_e32 v106, 0x7fffffff, v106
.LBB17_111:
	s_or_b64 exec, exec, s[12:13]
	v_or_b32_e32 v107, 0x1a00, v0
	v_cmp_gt_u32_e64 s[12:13], s33, v107
                                        ; implicit-def: $vgpr107_vgpr108
	s_and_saveexec_b64 s[14:15], s[12:13]
	s_cbranch_execz .LBB17_113
; %bb.112:
	v_add_co_u32_e32 v107, vcc, 0xd000, v1
	v_addc_co_u32_e32 v108, vcc, 0, v2, vcc
	global_load_dwordx2 v[107:108], v[107:108], off
	s_waitcnt vmcnt(0)
	v_and_b32_e32 v108, 0x7fffffff, v108
.LBB17_113:
	s_or_b64 exec, exec, s[14:15]
	v_or_b32_e32 v109, 0x1a80, v0
	v_cmp_gt_u32_e64 s[14:15], s33, v109
                                        ; implicit-def: $vgpr109_vgpr110
	s_and_saveexec_b64 s[16:17], s[14:15]
	s_cbranch_execz .LBB17_115
; %bb.114:
	v_add_co_u32_e32 v109, vcc, 0xd000, v1
	v_addc_co_u32_e32 v110, vcc, 0, v2, vcc
	global_load_dwordx2 v[109:110], v[109:110], off offset:1024
	s_waitcnt vmcnt(0)
	v_and_b32_e32 v110, 0x7fffffff, v110
.LBB17_115:
	s_or_b64 exec, exec, s[16:17]
	v_or_b32_e32 v111, 0x1b00, v0
	v_cmp_gt_u32_e64 s[16:17], s33, v111
                                        ; implicit-def: $vgpr111_vgpr112
	s_and_saveexec_b64 s[18:19], s[16:17]
	s_cbranch_execz .LBB17_117
; %bb.116:
	v_add_co_u32_e32 v111, vcc, 0xd000, v1
	v_addc_co_u32_e32 v112, vcc, 0, v2, vcc
	global_load_dwordx2 v[111:112], v[111:112], off offset:2048
	s_waitcnt vmcnt(0)
	v_and_b32_e32 v112, 0x7fffffff, v112
.LBB17_117:
	s_or_b64 exec, exec, s[18:19]
	v_or_b32_e32 v113, 0x1b80, v0
	v_cmp_gt_u32_e64 s[18:19], s33, v113
                                        ; implicit-def: $vgpr113_vgpr114
	s_and_saveexec_b64 s[20:21], s[18:19]
	s_cbranch_execz .LBB17_119
; %bb.118:
	v_add_co_u32_e32 v113, vcc, 0xd000, v1
	v_addc_co_u32_e32 v114, vcc, 0, v2, vcc
	global_load_dwordx2 v[113:114], v[113:114], off offset:3072
	s_waitcnt vmcnt(0)
	v_and_b32_e32 v114, 0x7fffffff, v114
.LBB17_119:
	s_or_b64 exec, exec, s[20:21]
	v_or_b32_e32 v115, 0x1c00, v0
	v_cmp_gt_u32_e64 s[20:21], s33, v115
                                        ; implicit-def: $vgpr115_vgpr116
	s_and_saveexec_b64 s[22:23], s[20:21]
	s_cbranch_execz .LBB17_121
; %bb.120:
	v_add_co_u32_e32 v115, vcc, 0xe000, v1
	v_addc_co_u32_e32 v116, vcc, 0, v2, vcc
	global_load_dwordx2 v[115:116], v[115:116], off
	s_waitcnt vmcnt(0)
	v_and_b32_e32 v116, 0x7fffffff, v116
.LBB17_121:
	s_or_b64 exec, exec, s[22:23]
	v_or_b32_e32 v117, 0x1c80, v0
	v_cmp_gt_u32_e64 s[22:23], s33, v117
                                        ; implicit-def: $vgpr117_vgpr118
	s_and_saveexec_b64 s[24:25], s[22:23]
	s_cbranch_execz .LBB17_123
; %bb.122:
	v_add_co_u32_e32 v117, vcc, 0xe000, v1
	v_addc_co_u32_e32 v118, vcc, 0, v2, vcc
	global_load_dwordx2 v[117:118], v[117:118], off offset:1024
	s_waitcnt vmcnt(0)
	v_and_b32_e32 v118, 0x7fffffff, v118
.LBB17_123:
	s_or_b64 exec, exec, s[24:25]
	v_or_b32_e32 v119, 0x1d00, v0
	v_cmp_gt_u32_e64 s[24:25], s33, v119
                                        ; implicit-def: $vgpr119_vgpr120
	s_and_saveexec_b64 s[26:27], s[24:25]
	s_cbranch_execz .LBB17_125
; %bb.124:
	v_add_co_u32_e32 v119, vcc, 0xe000, v1
	v_addc_co_u32_e32 v120, vcc, 0, v2, vcc
	global_load_dwordx2 v[119:120], v[119:120], off offset:2048
	s_waitcnt vmcnt(0)
	v_and_b32_e32 v120, 0x7fffffff, v120
.LBB17_125:
	s_or_b64 exec, exec, s[26:27]
	v_or_b32_e32 v121, 0x1d80, v0
	v_cmp_gt_u32_e64 s[26:27], s33, v121
                                        ; implicit-def: $vgpr121_vgpr122
	s_and_saveexec_b64 s[28:29], s[26:27]
	s_cbranch_execz .LBB17_127
; %bb.126:
	v_add_co_u32_e32 v121, vcc, 0xe000, v1
	v_addc_co_u32_e32 v122, vcc, 0, v2, vcc
	global_load_dwordx2 v[121:122], v[121:122], off offset:3072
	s_waitcnt vmcnt(0)
	v_and_b32_e32 v122, 0x7fffffff, v122
.LBB17_127:
	s_or_b64 exec, exec, s[28:29]
	v_or_b32_e32 v123, 0x1e00, v0
	v_cmp_gt_u32_e64 s[28:29], s33, v123
                                        ; implicit-def: $vgpr123_vgpr124
	s_and_saveexec_b64 s[30:31], s[28:29]
	s_cbranch_execz .LBB17_129
; %bb.128:
	v_add_co_u32_e32 v123, vcc, 0xf000, v1
	v_addc_co_u32_e32 v124, vcc, 0, v2, vcc
	global_load_dwordx2 v[123:124], v[123:124], off
	s_waitcnt vmcnt(0)
	v_and_b32_e32 v124, 0x7fffffff, v124
.LBB17_129:
	s_or_b64 exec, exec, s[30:31]
	v_or_b32_e32 v125, 0x1e80, v0
	v_cmp_gt_u32_e64 s[30:31], s33, v125
                                        ; implicit-def: $vgpr125_vgpr126
	s_and_saveexec_b64 s[34:35], s[30:31]
	s_cbranch_execz .LBB17_131
; %bb.130:
	v_add_co_u32_e32 v125, vcc, 0xf000, v1
	v_addc_co_u32_e32 v126, vcc, 0, v2, vcc
	global_load_dwordx2 v[125:126], v[125:126], off offset:1024
	s_waitcnt vmcnt(0)
	v_and_b32_e32 v126, 0x7fffffff, v126
.LBB17_131:
	s_or_b64 exec, exec, s[34:35]
	v_or_b32_e32 v127, 0x1f00, v0
	v_cmp_gt_u32_e64 s[34:35], s33, v127
                                        ; implicit-def: $vgpr127_vgpr128
	s_and_saveexec_b64 s[36:37], s[34:35]
	s_cbranch_execz .LBB17_133
; %bb.132:
	v_add_co_u32_e32 v127, vcc, 0xf000, v1
	v_addc_co_u32_e32 v128, vcc, 0, v2, vcc
	global_load_dwordx2 v[127:128], v[127:128], off offset:2048
	s_waitcnt vmcnt(0)
	v_and_b32_e32 v128, 0x7fffffff, v128
.LBB17_133:
	s_or_b64 exec, exec, s[36:37]
	v_or_b32_e32 v129, 0x1f80, v0
	v_cmp_gt_u32_e64 s[36:37], s33, v129
                                        ; implicit-def: $vgpr129_vgpr130
	s_and_saveexec_b64 s[38:39], s[36:37]
	s_cbranch_execz .LBB17_135
; %bb.134:
	v_add_co_u32_e32 v1, vcc, 0xf000, v1
	v_addc_co_u32_e32 v2, vcc, 0, v2, vcc
	global_load_dwordx2 v[129:130], v[1:2], off offset:3072
	s_waitcnt vmcnt(0)
	v_and_b32_e32 v130, 0x7fffffff, v130
.LBB17_135:
	s_or_b64 exec, exec, s[38:39]
	v_add_f64 v[1:2], v[3:4], v[5:6]
	v_readlane_b32 s38, v132, 6
	v_readlane_b32 s39, v132, 7
	v_mbcnt_hi_u32_b32 v5, -1, v131
	v_cndmask_b32_e64 v2, v4, v2, s[38:39]
	v_cndmask_b32_e64 v1, v3, v1, s[38:39]
	v_add_f64 v[3:4], v[1:2], v[7:8]
	v_readlane_b32 s38, v132, 8
	v_readlane_b32 s39, v132, 9
	v_and_b32_e32 v7, 63, v5
	v_cmp_ne_u32_e32 vcc, 63, v7
	v_addc_co_u32_e32 v6, vcc, 0, v5, vcc
	v_lshlrev_b32_e32 v6, 2, v6
	v_cndmask_b32_e64 v2, v2, v4, s[38:39]
	v_cndmask_b32_e64 v1, v1, v3, s[38:39]
	v_add_f64 v[3:4], v[1:2], v[9:10]
	v_readlane_b32 s38, v132, 10
	v_readlane_b32 s39, v132, 11
	v_add_u32_e32 v8, 1, v5
	v_cndmask_b32_e64 v2, v2, v4, s[38:39]
	v_cndmask_b32_e64 v1, v1, v3, s[38:39]
	v_add_f64 v[3:4], v[1:2], v[11:12]
	v_readlane_b32 s38, v132, 12
	v_readlane_b32 s39, v132, 13
	v_cndmask_b32_e64 v2, v2, v4, s[38:39]
	v_cndmask_b32_e64 v1, v1, v3, s[38:39]
	v_add_f64 v[3:4], v[1:2], v[13:14]
	v_readlane_b32 s38, v132, 14
	v_readlane_b32 s39, v132, 15
	;; [unrolled: 5-line block ×15, first 2 shown]
	v_cndmask_b32_e64 v2, v2, v4, s[38:39]
	v_cndmask_b32_e64 v1, v1, v3, s[38:39]
	v_add_f64 v[3:4], v[1:2], v[41:42]
	v_cndmask_b32_e64 v2, v2, v4, s[40:41]
	v_cndmask_b32_e64 v1, v1, v3, s[40:41]
	v_add_f64 v[3:4], v[1:2], v[43:44]
	;; [unrolled: 3-line block ×31, first 2 shown]
	s_min_u32 s2, s33, 0x80
	v_cndmask_b32_e64 v2, v2, v4, s[4:5]
	v_cndmask_b32_e64 v1, v1, v3, s[4:5]
	v_add_f64 v[3:4], v[1:2], v[103:104]
	v_cndmask_b32_e64 v2, v2, v4, s[8:9]
	v_cndmask_b32_e64 v1, v1, v3, s[8:9]
	v_add_f64 v[3:4], v[1:2], v[105:106]
	;; [unrolled: 3-line block ×14, first 2 shown]
	v_cndmask_b32_e64 v2, v2, v4, s[36:37]
	v_cndmask_b32_e64 v1, v1, v3, s[36:37]
	ds_bpermute_b32 v3, v6, v1
	ds_bpermute_b32 v4, v6, v2
	v_and_b32_e32 v6, 64, v0
	v_sub_u32_e64 v6, s2, v6 clamp
	v_cmp_lt_u32_e32 vcc, v8, v6
	s_and_saveexec_b64 s[0:1], vcc
	s_cbranch_execz .LBB17_137
; %bb.136:
	s_waitcnt lgkmcnt(0)
	v_add_f64 v[1:2], v[1:2], v[3:4]
.LBB17_137:
	s_or_b64 exec, exec, s[0:1]
	v_cmp_gt_u32_e32 vcc, 62, v7
	s_waitcnt lgkmcnt(1)
	v_cndmask_b32_e64 v3, 0, 1, vcc
	v_lshlrev_b32_e32 v3, 1, v3
	s_waitcnt lgkmcnt(0)
	v_add_lshl_u32 v4, v3, v5, 2
	ds_bpermute_b32 v3, v4, v1
	ds_bpermute_b32 v4, v4, v2
	v_add_u32_e32 v8, 2, v5
	v_cmp_lt_u32_e32 vcc, v8, v6
	s_and_saveexec_b64 s[0:1], vcc
	s_cbranch_execz .LBB17_139
; %bb.138:
	s_waitcnt lgkmcnt(0)
	v_add_f64 v[1:2], v[1:2], v[3:4]
.LBB17_139:
	s_or_b64 exec, exec, s[0:1]
	v_cmp_gt_u32_e32 vcc, 60, v7
	s_waitcnt lgkmcnt(1)
	v_cndmask_b32_e64 v3, 0, 1, vcc
	v_lshlrev_b32_e32 v3, 2, v3
	s_waitcnt lgkmcnt(0)
	v_add_lshl_u32 v4, v3, v5, 2
	ds_bpermute_b32 v3, v4, v1
	ds_bpermute_b32 v4, v4, v2
	v_add_u32_e32 v8, 4, v5
	;; [unrolled: 17-line block ×5, first 2 shown]
	v_cmp_lt_u32_e32 vcc, v7, v6
	s_waitcnt lgkmcnt(0)
	v_add_f64 v[3:4], v[1:2], v[3:4]
	v_cndmask_b32_e32 v4, v2, v4, vcc
	v_cndmask_b32_e32 v3, v1, v3, vcc
	v_cmp_eq_u32_e32 vcc, 0, v5
	s_and_saveexec_b64 s[0:1], vcc
	s_cbranch_execz .LBB17_147
; %bb.146:
	v_lshrrev_b32_e32 v1, 3, v0
	v_and_b32_e32 v1, 8, v1
	ds_write_b64 v1, v[3:4] offset:16
.LBB17_147:
	s_or_b64 exec, exec, s[0:1]
	v_cmp_gt_u32_e32 vcc, 2, v0
	s_waitcnt lgkmcnt(0)
	s_barrier
	s_and_saveexec_b64 s[0:1], vcc
	s_cbranch_execz .LBB17_149
; %bb.148:
	v_lshlrev_b32_e32 v1, 3, v5
	ds_read_b64 v[1:2], v1 offset:16
	v_lshl_or_b32 v4, v5, 2, 4
	s_add_i32 s2, s2, 63
	v_and_b32_e32 v5, 1, v5
	s_lshr_b32 s2, s2, 6
	s_waitcnt lgkmcnt(0)
	ds_bpermute_b32 v3, v4, v1
	ds_bpermute_b32 v4, v4, v2
	v_add_u32_e32 v5, 1, v5
	v_cmp_gt_u32_e32 vcc, s2, v5
	s_waitcnt lgkmcnt(0)
	v_add_f64 v[3:4], v[1:2], v[3:4]
	v_cndmask_b32_e32 v4, v2, v4, vcc
	v_cndmask_b32_e32 v3, v1, v3, vcc
.LBB17_149:
	s_or_b64 exec, exec, s[0:1]
.LBB17_150:
	v_cmp_eq_u32_e32 vcc, 0, v0
	s_and_saveexec_b64 s[0:1], vcc
	s_cbranch_execnz .LBB17_152
; %bb.151:
	s_endpgm
.LBB17_152:
	v_readlane_b32 s2, v132, 0
	v_readlane_b32 s3, v132, 1
	v_add_f64 v[0:1], v[3:4], s[2:3]
	s_lshl_b64 s[0:1], s[6:7], 3
	v_readlane_b32 s4, v132, 2
	v_readlane_b32 s6, v132, 4
	;; [unrolled: 1-line block ×3, first 2 shown]
	s_add_u32 s0, s6, s0
	v_readlane_b32 s5, v132, 3
	s_addc_u32 s1, s7, s1
	s_cmp_eq_u64 s[4:5], 0
	v_mov_b32_e32 v3, s3
	s_cselect_b64 vcc, -1, 0
	v_cndmask_b32_e32 v1, v1, v3, vcc
	v_mov_b32_e32 v3, s2
	v_mov_b32_e32 v2, 0
	v_cndmask_b32_e32 v0, v0, v3, vcc
	global_store_dwordx2 v2, v[0:1], s[0:1]
	s_endpgm
	.section	.rodata,"a",@progbits
	.p2align	6, 0x0
	.amdhsa_kernel _ZN7rocprim6detail19block_reduce_kernelILb1ELb1ELj16ENS0_21wrapped_reduce_configINS_14default_configEdEEdN6thrust11hip_rocprim26transform_input_iterator_tIdNS5_6detail15normal_iteratorINS5_10device_ptrIdEEEEZ4mainEUldE_EEPddNS5_4plusIdEEEEvT4_mT5_T6_T7_
		.amdhsa_group_segment_fixed_size 32
		.amdhsa_private_segment_fixed_size 0
		.amdhsa_kernarg_size 44
		.amdhsa_user_sgpr_count 6
		.amdhsa_user_sgpr_private_segment_buffer 1
		.amdhsa_user_sgpr_dispatch_ptr 0
		.amdhsa_user_sgpr_queue_ptr 0
		.amdhsa_user_sgpr_kernarg_segment_ptr 1
		.amdhsa_user_sgpr_dispatch_id 0
		.amdhsa_user_sgpr_flat_scratch_init 0
		.amdhsa_user_sgpr_private_segment_size 0
		.amdhsa_uses_dynamic_stack 0
		.amdhsa_system_sgpr_private_segment_wavefront_offset 0
		.amdhsa_system_sgpr_workgroup_id_x 1
		.amdhsa_system_sgpr_workgroup_id_y 0
		.amdhsa_system_sgpr_workgroup_id_z 0
		.amdhsa_system_sgpr_workgroup_info 0
		.amdhsa_system_vgpr_workitem_id 0
		.amdhsa_next_free_vgpr 133
		.amdhsa_next_free_sgpr 96
		.amdhsa_reserve_vcc 1
		.amdhsa_reserve_flat_scratch 0
		.amdhsa_float_round_mode_32 0
		.amdhsa_float_round_mode_16_64 0
		.amdhsa_float_denorm_mode_32 3
		.amdhsa_float_denorm_mode_16_64 3
		.amdhsa_dx10_clamp 1
		.amdhsa_ieee_mode 1
		.amdhsa_fp16_overflow 0
		.amdhsa_exception_fp_ieee_invalid_op 0
		.amdhsa_exception_fp_denorm_src 0
		.amdhsa_exception_fp_ieee_div_zero 0
		.amdhsa_exception_fp_ieee_overflow 0
		.amdhsa_exception_fp_ieee_underflow 0
		.amdhsa_exception_fp_ieee_inexact 0
		.amdhsa_exception_int_div_zero 0
	.end_amdhsa_kernel
	.section	.text._ZN7rocprim6detail19block_reduce_kernelILb1ELb1ELj16ENS0_21wrapped_reduce_configINS_14default_configEdEEdN6thrust11hip_rocprim26transform_input_iterator_tIdNS5_6detail15normal_iteratorINS5_10device_ptrIdEEEEZ4mainEUldE_EEPddNS5_4plusIdEEEEvT4_mT5_T6_T7_,"axG",@progbits,_ZN7rocprim6detail19block_reduce_kernelILb1ELb1ELj16ENS0_21wrapped_reduce_configINS_14default_configEdEEdN6thrust11hip_rocprim26transform_input_iterator_tIdNS5_6detail15normal_iteratorINS5_10device_ptrIdEEEEZ4mainEUldE_EEPddNS5_4plusIdEEEEvT4_mT5_T6_T7_,comdat
.Lfunc_end17:
	.size	_ZN7rocprim6detail19block_reduce_kernelILb1ELb1ELj16ENS0_21wrapped_reduce_configINS_14default_configEdEEdN6thrust11hip_rocprim26transform_input_iterator_tIdNS5_6detail15normal_iteratorINS5_10device_ptrIdEEEEZ4mainEUldE_EEPddNS5_4plusIdEEEEvT4_mT5_T6_T7_, .Lfunc_end17-_ZN7rocprim6detail19block_reduce_kernelILb1ELb1ELj16ENS0_21wrapped_reduce_configINS_14default_configEdEEdN6thrust11hip_rocprim26transform_input_iterator_tIdNS5_6detail15normal_iteratorINS5_10device_ptrIdEEEEZ4mainEUldE_EEPddNS5_4plusIdEEEEvT4_mT5_T6_T7_
                                        ; -- End function
	.section	.AMDGPU.csdata,"",@progbits
; Kernel info:
; codeLenInByte = 8696
; NumSgprs: 100
; NumVgprs: 133
; ScratchSize: 0
; MemoryBound: 1
; FloatMode: 240
; IeeeMode: 1
; LDSByteSize: 32 bytes/workgroup (compile time only)
; SGPRBlocks: 12
; VGPRBlocks: 33
; NumSGPRsForWavesPerEU: 100
; NumVGPRsForWavesPerEU: 133
; Occupancy: 1
; WaveLimiterHint : 1
; COMPUTE_PGM_RSRC2:SCRATCH_EN: 0
; COMPUTE_PGM_RSRC2:USER_SGPR: 6
; COMPUTE_PGM_RSRC2:TRAP_HANDLER: 0
; COMPUTE_PGM_RSRC2:TGID_X_EN: 1
; COMPUTE_PGM_RSRC2:TGID_Y_EN: 0
; COMPUTE_PGM_RSRC2:TGID_Z_EN: 0
; COMPUTE_PGM_RSRC2:TIDIG_COMP_CNT: 0
	.section	.text._ZN7rocprim6detail19block_reduce_kernelILb1ELb0ELj16ENS0_21wrapped_reduce_configINS_14default_configEdEEdN6thrust11hip_rocprim26transform_input_iterator_tIdNS5_6detail15normal_iteratorINS5_10device_ptrIdEEEEZ4mainEUldE_EEPddNS5_4plusIdEEEEvT4_mT5_T6_T7_,"axG",@progbits,_ZN7rocprim6detail19block_reduce_kernelILb1ELb0ELj16ENS0_21wrapped_reduce_configINS_14default_configEdEEdN6thrust11hip_rocprim26transform_input_iterator_tIdNS5_6detail15normal_iteratorINS5_10device_ptrIdEEEEZ4mainEUldE_EEPddNS5_4plusIdEEEEvT4_mT5_T6_T7_,comdat
	.globl	_ZN7rocprim6detail19block_reduce_kernelILb1ELb0ELj16ENS0_21wrapped_reduce_configINS_14default_configEdEEdN6thrust11hip_rocprim26transform_input_iterator_tIdNS5_6detail15normal_iteratorINS5_10device_ptrIdEEEEZ4mainEUldE_EEPddNS5_4plusIdEEEEvT4_mT5_T6_T7_ ; -- Begin function _ZN7rocprim6detail19block_reduce_kernelILb1ELb0ELj16ENS0_21wrapped_reduce_configINS_14default_configEdEEdN6thrust11hip_rocprim26transform_input_iterator_tIdNS5_6detail15normal_iteratorINS5_10device_ptrIdEEEEZ4mainEUldE_EEPddNS5_4plusIdEEEEvT4_mT5_T6_T7_
	.p2align	8
	.type	_ZN7rocprim6detail19block_reduce_kernelILb1ELb0ELj16ENS0_21wrapped_reduce_configINS_14default_configEdEEdN6thrust11hip_rocprim26transform_input_iterator_tIdNS5_6detail15normal_iteratorINS5_10device_ptrIdEEEEZ4mainEUldE_EEPddNS5_4plusIdEEEEvT4_mT5_T6_T7_,@function
_ZN7rocprim6detail19block_reduce_kernelILb1ELb0ELj16ENS0_21wrapped_reduce_configINS_14default_configEdEEdN6thrust11hip_rocprim26transform_input_iterator_tIdNS5_6detail15normal_iteratorINS5_10device_ptrIdEEEEZ4mainEUldE_EEPddNS5_4plusIdEEEEvT4_mT5_T6_T7_: ; @_ZN7rocprim6detail19block_reduce_kernelILb1ELb0ELj16ENS0_21wrapped_reduce_configINS_14default_configEdEEdN6thrust11hip_rocprim26transform_input_iterator_tIdNS5_6detail15normal_iteratorINS5_10device_ptrIdEEEEZ4mainEUldE_EEPddNS5_4plusIdEEEEvT4_mT5_T6_T7_
; %bb.0:
	s_load_dwordx2 s[10:11], s[4:5], 0x0
	s_load_dwordx4 s[0:3], s[4:5], 0x10
	s_load_dwordx2 s[8:9], s[4:5], 0x20
	s_mov_b32 s5, 0
	s_lshl_b32 s4, s6, 7
	s_mov_b32 s7, s5
	s_waitcnt lgkmcnt(0)
	s_lshr_b64 s[12:13], s[0:1], 7
	s_cmp_lg_u64 s[12:13], s[6:7]
	v_mbcnt_lo_u32_b32 v3, -1, 0
	s_cbranch_scc0 .LBB18_6
; %bb.1:
	s_lshl_b64 s[12:13], s[4:5], 3
	s_add_u32 s12, s10, s12
	s_addc_u32 s13, s11, s13
	v_lshlrev_b32_e32 v1, 3, v0
	global_load_dwordx2 v[1:2], v1, s[12:13]
	s_waitcnt vmcnt(0)
	v_and_b32_e32 v5, 0x7fffffff, v2
	v_mov_b32_dpp v4, v1 quad_perm:[1,0,3,2] row_mask:0xf bank_mask:0xf
	s_nop 0
	v_mov_b32_dpp v5, v5 quad_perm:[1,0,3,2] row_mask:0xf bank_mask:0xf
	v_add_f64 v[1:2], |v[1:2]|, v[4:5]
	s_nop 1
	v_mov_b32_dpp v4, v1 quad_perm:[2,3,0,1] row_mask:0xf bank_mask:0xf
	v_mov_b32_dpp v5, v2 quad_perm:[2,3,0,1] row_mask:0xf bank_mask:0xf
	v_add_f64 v[1:2], v[1:2], v[4:5]
	s_nop 1
	v_mov_b32_dpp v4, v1 row_ror:4 row_mask:0xf bank_mask:0xf
	v_mov_b32_dpp v5, v2 row_ror:4 row_mask:0xf bank_mask:0xf
	v_add_f64 v[1:2], v[1:2], v[4:5]
	s_nop 1
	v_mov_b32_dpp v4, v1 row_ror:8 row_mask:0xf bank_mask:0xf
	v_mov_b32_dpp v5, v2 row_ror:8 row_mask:0xf bank_mask:0xf
	v_add_f64 v[1:2], v[1:2], v[4:5]
	s_nop 1
	v_mov_b32_dpp v4, v1 row_bcast:15 row_mask:0xf bank_mask:0xf
	v_mov_b32_dpp v5, v2 row_bcast:15 row_mask:0xf bank_mask:0xf
	v_add_f64 v[1:2], v[1:2], v[4:5]
	s_nop 1
	v_mov_b32_dpp v4, v1 row_bcast:31 row_mask:0xf bank_mask:0xf
	v_mov_b32_dpp v5, v2 row_bcast:31 row_mask:0xf bank_mask:0xf
	v_add_f64 v[1:2], v[1:2], v[4:5]
	v_mbcnt_hi_u32_b32 v5, -1, v3
	v_lshlrev_b32_e32 v4, 2, v5
	v_or_b32_e32 v6, 0xfc, v4
	v_cmp_eq_u32_e32 vcc, 0, v5
	ds_bpermute_b32 v1, v6, v1
	ds_bpermute_b32 v2, v6, v2
	s_and_saveexec_b64 s[12:13], vcc
	s_cbranch_execz .LBB18_3
; %bb.2:
	v_lshrrev_b32_e32 v6, 3, v0
	v_and_b32_e32 v6, 8, v6
	s_waitcnt lgkmcnt(0)
	ds_write_b64 v6, v[1:2]
.LBB18_3:
	s_or_b64 exec, exec, s[12:13]
	v_cmp_gt_u32_e32 vcc, 64, v0
	s_waitcnt lgkmcnt(0)
	s_barrier
	s_and_saveexec_b64 s[12:13], vcc
	s_cbranch_execz .LBB18_5
; %bb.4:
	v_and_b32_e32 v1, 1, v5
	v_lshlrev_b32_e32 v1, 3, v1
	ds_read_b64 v[1:2], v1
	v_or_b32_e32 v5, 4, v4
	s_waitcnt lgkmcnt(0)
	ds_bpermute_b32 v4, v5, v1
	ds_bpermute_b32 v5, v5, v2
	s_waitcnt lgkmcnt(0)
	v_add_f64 v[1:2], v[1:2], v[4:5]
.LBB18_5:
	s_or_b64 exec, exec, s[12:13]
	s_branch .LBB18_24
.LBB18_6:
                                        ; implicit-def: $vgpr1_vgpr2
	s_cbranch_execz .LBB18_24
; %bb.7:
	s_sub_i32 s14, s0, s4
	v_cmp_gt_u32_e32 vcc, s14, v0
                                        ; implicit-def: $vgpr1_vgpr2
	s_and_saveexec_b64 s[12:13], vcc
	s_cbranch_execz .LBB18_9
; %bb.8:
	s_lshl_b64 s[4:5], s[4:5], 3
	s_add_u32 s4, s10, s4
	s_addc_u32 s5, s11, s5
	v_lshlrev_b32_e32 v1, 3, v0
	global_load_dwordx2 v[1:2], v1, s[4:5]
	s_waitcnt vmcnt(0)
	v_and_b32_e32 v2, 0x7fffffff, v2
.LBB18_9:
	s_or_b64 exec, exec, s[12:13]
	v_mbcnt_hi_u32_b32 v5, -1, v3
	v_and_b32_e32 v7, 63, v5
	v_cmp_ne_u32_e32 vcc, 63, v7
	v_addc_co_u32_e32 v3, vcc, 0, v5, vcc
	v_lshlrev_b32_e32 v4, 2, v3
	ds_bpermute_b32 v3, v4, v1
	ds_bpermute_b32 v4, v4, v2
	s_min_u32 s10, s14, 0x80
	v_and_b32_e32 v6, 64, v0
	v_sub_u32_e64 v6, s10, v6 clamp
	v_add_u32_e32 v8, 1, v5
	v_cmp_lt_u32_e32 vcc, v8, v6
	s_and_saveexec_b64 s[4:5], vcc
	s_cbranch_execz .LBB18_11
; %bb.10:
	s_waitcnt lgkmcnt(0)
	v_add_f64 v[1:2], v[1:2], v[3:4]
.LBB18_11:
	s_or_b64 exec, exec, s[4:5]
	v_cmp_gt_u32_e32 vcc, 62, v7
	s_waitcnt lgkmcnt(1)
	v_cndmask_b32_e64 v3, 0, 1, vcc
	v_lshlrev_b32_e32 v3, 1, v3
	s_waitcnt lgkmcnt(0)
	v_add_lshl_u32 v4, v3, v5, 2
	ds_bpermute_b32 v3, v4, v1
	ds_bpermute_b32 v4, v4, v2
	v_add_u32_e32 v8, 2, v5
	v_cmp_lt_u32_e32 vcc, v8, v6
	s_and_saveexec_b64 s[4:5], vcc
	s_cbranch_execz .LBB18_13
; %bb.12:
	s_waitcnt lgkmcnt(0)
	v_add_f64 v[1:2], v[1:2], v[3:4]
.LBB18_13:
	s_or_b64 exec, exec, s[4:5]
	v_cmp_gt_u32_e32 vcc, 60, v7
	s_waitcnt lgkmcnt(1)
	v_cndmask_b32_e64 v3, 0, 1, vcc
	v_lshlrev_b32_e32 v3, 2, v3
	s_waitcnt lgkmcnt(0)
	v_add_lshl_u32 v4, v3, v5, 2
	ds_bpermute_b32 v3, v4, v1
	ds_bpermute_b32 v4, v4, v2
	;; [unrolled: 17-line block ×5, first 2 shown]
	v_add_u32_e32 v7, 32, v5
	v_cmp_lt_u32_e32 vcc, v7, v6
	s_waitcnt lgkmcnt(0)
	v_add_f64 v[3:4], v[1:2], v[3:4]
	v_cndmask_b32_e32 v2, v2, v4, vcc
	v_cndmask_b32_e32 v1, v1, v3, vcc
	v_cmp_eq_u32_e32 vcc, 0, v5
	s_and_saveexec_b64 s[4:5], vcc
	s_cbranch_execz .LBB18_21
; %bb.20:
	v_lshrrev_b32_e32 v3, 3, v0
	v_and_b32_e32 v3, 8, v3
	ds_write_b64 v3, v[1:2] offset:16
.LBB18_21:
	s_or_b64 exec, exec, s[4:5]
	v_cmp_gt_u32_e32 vcc, 2, v0
	s_waitcnt lgkmcnt(0)
	s_barrier
	s_and_saveexec_b64 s[4:5], vcc
	s_cbranch_execz .LBB18_23
; %bb.22:
	v_lshlrev_b32_e32 v1, 3, v5
	ds_read_b64 v[1:2], v1 offset:16
	v_lshl_or_b32 v4, v5, 2, 4
	s_add_i32 s10, s10, 63
	v_and_b32_e32 v5, 1, v5
	s_lshr_b32 s10, s10, 6
	s_waitcnt lgkmcnt(0)
	ds_bpermute_b32 v3, v4, v1
	ds_bpermute_b32 v4, v4, v2
	v_add_u32_e32 v5, 1, v5
	v_cmp_gt_u32_e32 vcc, s10, v5
	s_waitcnt lgkmcnt(0)
	v_add_f64 v[3:4], v[1:2], v[3:4]
	v_cndmask_b32_e32 v2, v2, v4, vcc
	v_cndmask_b32_e32 v1, v1, v3, vcc
.LBB18_23:
	s_or_b64 exec, exec, s[4:5]
.LBB18_24:
	v_cmp_eq_u32_e32 vcc, 0, v0
	s_and_saveexec_b64 s[4:5], vcc
	s_cbranch_execnz .LBB18_26
; %bb.25:
	s_endpgm
.LBB18_26:
	v_add_f64 v[0:1], v[1:2], s[8:9]
	s_lshl_b64 s[4:5], s[6:7], 3
	s_add_u32 s2, s2, s4
	s_addc_u32 s3, s3, s5
	s_cmp_eq_u64 s[0:1], 0
	v_mov_b32_e32 v3, s9
	s_cselect_b64 vcc, -1, 0
	v_mov_b32_e32 v2, 0
	v_cndmask_b32_e32 v1, v1, v3, vcc
	v_mov_b32_e32 v3, s8
	v_cndmask_b32_e32 v0, v0, v3, vcc
	global_store_dwordx2 v2, v[0:1], s[2:3]
	s_endpgm
	.section	.rodata,"a",@progbits
	.p2align	6, 0x0
	.amdhsa_kernel _ZN7rocprim6detail19block_reduce_kernelILb1ELb0ELj16ENS0_21wrapped_reduce_configINS_14default_configEdEEdN6thrust11hip_rocprim26transform_input_iterator_tIdNS5_6detail15normal_iteratorINS5_10device_ptrIdEEEEZ4mainEUldE_EEPddNS5_4plusIdEEEEvT4_mT5_T6_T7_
		.amdhsa_group_segment_fixed_size 32
		.amdhsa_private_segment_fixed_size 0
		.amdhsa_kernarg_size 44
		.amdhsa_user_sgpr_count 6
		.amdhsa_user_sgpr_private_segment_buffer 1
		.amdhsa_user_sgpr_dispatch_ptr 0
		.amdhsa_user_sgpr_queue_ptr 0
		.amdhsa_user_sgpr_kernarg_segment_ptr 1
		.amdhsa_user_sgpr_dispatch_id 0
		.amdhsa_user_sgpr_flat_scratch_init 0
		.amdhsa_user_sgpr_private_segment_size 0
		.amdhsa_uses_dynamic_stack 0
		.amdhsa_system_sgpr_private_segment_wavefront_offset 0
		.amdhsa_system_sgpr_workgroup_id_x 1
		.amdhsa_system_sgpr_workgroup_id_y 0
		.amdhsa_system_sgpr_workgroup_id_z 0
		.amdhsa_system_sgpr_workgroup_info 0
		.amdhsa_system_vgpr_workitem_id 0
		.amdhsa_next_free_vgpr 9
		.amdhsa_next_free_sgpr 15
		.amdhsa_reserve_vcc 1
		.amdhsa_reserve_flat_scratch 0
		.amdhsa_float_round_mode_32 0
		.amdhsa_float_round_mode_16_64 0
		.amdhsa_float_denorm_mode_32 3
		.amdhsa_float_denorm_mode_16_64 3
		.amdhsa_dx10_clamp 1
		.amdhsa_ieee_mode 1
		.amdhsa_fp16_overflow 0
		.amdhsa_exception_fp_ieee_invalid_op 0
		.amdhsa_exception_fp_denorm_src 0
		.amdhsa_exception_fp_ieee_div_zero 0
		.amdhsa_exception_fp_ieee_overflow 0
		.amdhsa_exception_fp_ieee_underflow 0
		.amdhsa_exception_fp_ieee_inexact 0
		.amdhsa_exception_int_div_zero 0
	.end_amdhsa_kernel
	.section	.text._ZN7rocprim6detail19block_reduce_kernelILb1ELb0ELj16ENS0_21wrapped_reduce_configINS_14default_configEdEEdN6thrust11hip_rocprim26transform_input_iterator_tIdNS5_6detail15normal_iteratorINS5_10device_ptrIdEEEEZ4mainEUldE_EEPddNS5_4plusIdEEEEvT4_mT5_T6_T7_,"axG",@progbits,_ZN7rocprim6detail19block_reduce_kernelILb1ELb0ELj16ENS0_21wrapped_reduce_configINS_14default_configEdEEdN6thrust11hip_rocprim26transform_input_iterator_tIdNS5_6detail15normal_iteratorINS5_10device_ptrIdEEEEZ4mainEUldE_EEPddNS5_4plusIdEEEEvT4_mT5_T6_T7_,comdat
.Lfunc_end18:
	.size	_ZN7rocprim6detail19block_reduce_kernelILb1ELb0ELj16ENS0_21wrapped_reduce_configINS_14default_configEdEEdN6thrust11hip_rocprim26transform_input_iterator_tIdNS5_6detail15normal_iteratorINS5_10device_ptrIdEEEEZ4mainEUldE_EEPddNS5_4plusIdEEEEvT4_mT5_T6_T7_, .Lfunc_end18-_ZN7rocprim6detail19block_reduce_kernelILb1ELb0ELj16ENS0_21wrapped_reduce_configINS_14default_configEdEEdN6thrust11hip_rocprim26transform_input_iterator_tIdNS5_6detail15normal_iteratorINS5_10device_ptrIdEEEEZ4mainEUldE_EEPddNS5_4plusIdEEEEvT4_mT5_T6_T7_
                                        ; -- End function
	.section	.AMDGPU.csdata,"",@progbits
; Kernel info:
; codeLenInByte = 1176
; NumSgprs: 19
; NumVgprs: 9
; ScratchSize: 0
; MemoryBound: 0
; FloatMode: 240
; IeeeMode: 1
; LDSByteSize: 32 bytes/workgroup (compile time only)
; SGPRBlocks: 2
; VGPRBlocks: 2
; NumSGPRsForWavesPerEU: 19
; NumVGPRsForWavesPerEU: 9
; Occupancy: 8
; WaveLimiterHint : 0
; COMPUTE_PGM_RSRC2:SCRATCH_EN: 0
; COMPUTE_PGM_RSRC2:USER_SGPR: 6
; COMPUTE_PGM_RSRC2:TRAP_HANDLER: 0
; COMPUTE_PGM_RSRC2:TGID_X_EN: 1
; COMPUTE_PGM_RSRC2:TGID_Y_EN: 0
; COMPUTE_PGM_RSRC2:TGID_Z_EN: 0
; COMPUTE_PGM_RSRC2:TIDIG_COMP_CNT: 0
	.section	.text._ZN7rocprim6detail19block_reduce_kernelILb1ELb0ELj8ENS0_21wrapped_reduce_configINS_14default_configEdEEdN6thrust11hip_rocprim26transform_input_iterator_tIdNS5_6detail15normal_iteratorINS5_10device_ptrIdEEEEZ4mainEUldE_EEPddNS5_4plusIdEEEEvT4_mT5_T6_T7_,"axG",@progbits,_ZN7rocprim6detail19block_reduce_kernelILb1ELb0ELj8ENS0_21wrapped_reduce_configINS_14default_configEdEEdN6thrust11hip_rocprim26transform_input_iterator_tIdNS5_6detail15normal_iteratorINS5_10device_ptrIdEEEEZ4mainEUldE_EEPddNS5_4plusIdEEEEvT4_mT5_T6_T7_,comdat
	.globl	_ZN7rocprim6detail19block_reduce_kernelILb1ELb0ELj8ENS0_21wrapped_reduce_configINS_14default_configEdEEdN6thrust11hip_rocprim26transform_input_iterator_tIdNS5_6detail15normal_iteratorINS5_10device_ptrIdEEEEZ4mainEUldE_EEPddNS5_4plusIdEEEEvT4_mT5_T6_T7_ ; -- Begin function _ZN7rocprim6detail19block_reduce_kernelILb1ELb0ELj8ENS0_21wrapped_reduce_configINS_14default_configEdEEdN6thrust11hip_rocprim26transform_input_iterator_tIdNS5_6detail15normal_iteratorINS5_10device_ptrIdEEEEZ4mainEUldE_EEPddNS5_4plusIdEEEEvT4_mT5_T6_T7_
	.p2align	8
	.type	_ZN7rocprim6detail19block_reduce_kernelILb1ELb0ELj8ENS0_21wrapped_reduce_configINS_14default_configEdEEdN6thrust11hip_rocprim26transform_input_iterator_tIdNS5_6detail15normal_iteratorINS5_10device_ptrIdEEEEZ4mainEUldE_EEPddNS5_4plusIdEEEEvT4_mT5_T6_T7_,@function
_ZN7rocprim6detail19block_reduce_kernelILb1ELb0ELj8ENS0_21wrapped_reduce_configINS_14default_configEdEEdN6thrust11hip_rocprim26transform_input_iterator_tIdNS5_6detail15normal_iteratorINS5_10device_ptrIdEEEEZ4mainEUldE_EEPddNS5_4plusIdEEEEvT4_mT5_T6_T7_: ; @_ZN7rocprim6detail19block_reduce_kernelILb1ELb0ELj8ENS0_21wrapped_reduce_configINS_14default_configEdEEdN6thrust11hip_rocprim26transform_input_iterator_tIdNS5_6detail15normal_iteratorINS5_10device_ptrIdEEEEZ4mainEUldE_EEPddNS5_4plusIdEEEEvT4_mT5_T6_T7_
; %bb.0:
	s_load_dwordx2 s[10:11], s[4:5], 0x0
	s_load_dwordx4 s[0:3], s[4:5], 0x10
	s_load_dwordx2 s[8:9], s[4:5], 0x20
	s_mov_b32 s5, 0
	s_lshl_b32 s4, s6, 7
	s_mov_b32 s7, s5
	s_waitcnt lgkmcnt(0)
	s_lshr_b64 s[12:13], s[0:1], 7
	s_cmp_lg_u64 s[12:13], s[6:7]
	v_mbcnt_lo_u32_b32 v3, -1, 0
	s_cbranch_scc0 .LBB19_6
; %bb.1:
	s_lshl_b64 s[12:13], s[4:5], 3
	s_add_u32 s12, s10, s12
	s_addc_u32 s13, s11, s13
	v_lshlrev_b32_e32 v1, 3, v0
	global_load_dwordx2 v[1:2], v1, s[12:13]
	s_waitcnt vmcnt(0)
	v_and_b32_e32 v5, 0x7fffffff, v2
	v_mov_b32_dpp v4, v1 quad_perm:[1,0,3,2] row_mask:0xf bank_mask:0xf
	s_nop 0
	v_mov_b32_dpp v5, v5 quad_perm:[1,0,3,2] row_mask:0xf bank_mask:0xf
	v_add_f64 v[1:2], |v[1:2]|, v[4:5]
	s_nop 1
	v_mov_b32_dpp v4, v1 quad_perm:[2,3,0,1] row_mask:0xf bank_mask:0xf
	v_mov_b32_dpp v5, v2 quad_perm:[2,3,0,1] row_mask:0xf bank_mask:0xf
	v_add_f64 v[1:2], v[1:2], v[4:5]
	s_nop 1
	v_mov_b32_dpp v4, v1 row_ror:4 row_mask:0xf bank_mask:0xf
	v_mov_b32_dpp v5, v2 row_ror:4 row_mask:0xf bank_mask:0xf
	v_add_f64 v[1:2], v[1:2], v[4:5]
	s_nop 1
	v_mov_b32_dpp v4, v1 row_ror:8 row_mask:0xf bank_mask:0xf
	v_mov_b32_dpp v5, v2 row_ror:8 row_mask:0xf bank_mask:0xf
	v_add_f64 v[1:2], v[1:2], v[4:5]
	s_nop 1
	v_mov_b32_dpp v4, v1 row_bcast:15 row_mask:0xf bank_mask:0xf
	v_mov_b32_dpp v5, v2 row_bcast:15 row_mask:0xf bank_mask:0xf
	v_add_f64 v[1:2], v[1:2], v[4:5]
	s_nop 1
	v_mov_b32_dpp v4, v1 row_bcast:31 row_mask:0xf bank_mask:0xf
	v_mov_b32_dpp v5, v2 row_bcast:31 row_mask:0xf bank_mask:0xf
	v_add_f64 v[1:2], v[1:2], v[4:5]
	v_mbcnt_hi_u32_b32 v5, -1, v3
	v_lshlrev_b32_e32 v4, 2, v5
	v_or_b32_e32 v6, 0xfc, v4
	v_cmp_eq_u32_e32 vcc, 0, v5
	ds_bpermute_b32 v1, v6, v1
	ds_bpermute_b32 v2, v6, v2
	s_and_saveexec_b64 s[12:13], vcc
	s_cbranch_execz .LBB19_3
; %bb.2:
	v_lshrrev_b32_e32 v6, 3, v0
	v_and_b32_e32 v6, 8, v6
	s_waitcnt lgkmcnt(0)
	ds_write_b64 v6, v[1:2]
.LBB19_3:
	s_or_b64 exec, exec, s[12:13]
	v_cmp_gt_u32_e32 vcc, 64, v0
	s_waitcnt lgkmcnt(0)
	s_barrier
	s_and_saveexec_b64 s[12:13], vcc
	s_cbranch_execz .LBB19_5
; %bb.4:
	v_and_b32_e32 v1, 1, v5
	v_lshlrev_b32_e32 v1, 3, v1
	ds_read_b64 v[1:2], v1
	v_or_b32_e32 v5, 4, v4
	s_waitcnt lgkmcnt(0)
	ds_bpermute_b32 v4, v5, v1
	ds_bpermute_b32 v5, v5, v2
	s_waitcnt lgkmcnt(0)
	v_add_f64 v[1:2], v[1:2], v[4:5]
.LBB19_5:
	s_or_b64 exec, exec, s[12:13]
	s_branch .LBB19_24
.LBB19_6:
                                        ; implicit-def: $vgpr1_vgpr2
	s_cbranch_execz .LBB19_24
; %bb.7:
	s_sub_i32 s14, s0, s4
	v_cmp_gt_u32_e32 vcc, s14, v0
                                        ; implicit-def: $vgpr1_vgpr2
	s_and_saveexec_b64 s[12:13], vcc
	s_cbranch_execz .LBB19_9
; %bb.8:
	s_lshl_b64 s[4:5], s[4:5], 3
	s_add_u32 s4, s10, s4
	s_addc_u32 s5, s11, s5
	v_lshlrev_b32_e32 v1, 3, v0
	global_load_dwordx2 v[1:2], v1, s[4:5]
	s_waitcnt vmcnt(0)
	v_and_b32_e32 v2, 0x7fffffff, v2
.LBB19_9:
	s_or_b64 exec, exec, s[12:13]
	v_mbcnt_hi_u32_b32 v5, -1, v3
	v_and_b32_e32 v7, 63, v5
	v_cmp_ne_u32_e32 vcc, 63, v7
	v_addc_co_u32_e32 v3, vcc, 0, v5, vcc
	v_lshlrev_b32_e32 v4, 2, v3
	ds_bpermute_b32 v3, v4, v1
	ds_bpermute_b32 v4, v4, v2
	s_min_u32 s10, s14, 0x80
	v_and_b32_e32 v6, 64, v0
	v_sub_u32_e64 v6, s10, v6 clamp
	v_add_u32_e32 v8, 1, v5
	v_cmp_lt_u32_e32 vcc, v8, v6
	s_and_saveexec_b64 s[4:5], vcc
	s_cbranch_execz .LBB19_11
; %bb.10:
	s_waitcnt lgkmcnt(0)
	v_add_f64 v[1:2], v[1:2], v[3:4]
.LBB19_11:
	s_or_b64 exec, exec, s[4:5]
	v_cmp_gt_u32_e32 vcc, 62, v7
	s_waitcnt lgkmcnt(1)
	v_cndmask_b32_e64 v3, 0, 1, vcc
	v_lshlrev_b32_e32 v3, 1, v3
	s_waitcnt lgkmcnt(0)
	v_add_lshl_u32 v4, v3, v5, 2
	ds_bpermute_b32 v3, v4, v1
	ds_bpermute_b32 v4, v4, v2
	v_add_u32_e32 v8, 2, v5
	v_cmp_lt_u32_e32 vcc, v8, v6
	s_and_saveexec_b64 s[4:5], vcc
	s_cbranch_execz .LBB19_13
; %bb.12:
	s_waitcnt lgkmcnt(0)
	v_add_f64 v[1:2], v[1:2], v[3:4]
.LBB19_13:
	s_or_b64 exec, exec, s[4:5]
	v_cmp_gt_u32_e32 vcc, 60, v7
	s_waitcnt lgkmcnt(1)
	v_cndmask_b32_e64 v3, 0, 1, vcc
	v_lshlrev_b32_e32 v3, 2, v3
	s_waitcnt lgkmcnt(0)
	v_add_lshl_u32 v4, v3, v5, 2
	ds_bpermute_b32 v3, v4, v1
	ds_bpermute_b32 v4, v4, v2
	;; [unrolled: 17-line block ×5, first 2 shown]
	v_add_u32_e32 v7, 32, v5
	v_cmp_lt_u32_e32 vcc, v7, v6
	s_waitcnt lgkmcnt(0)
	v_add_f64 v[3:4], v[1:2], v[3:4]
	v_cndmask_b32_e32 v2, v2, v4, vcc
	v_cndmask_b32_e32 v1, v1, v3, vcc
	v_cmp_eq_u32_e32 vcc, 0, v5
	s_and_saveexec_b64 s[4:5], vcc
	s_cbranch_execz .LBB19_21
; %bb.20:
	v_lshrrev_b32_e32 v3, 3, v0
	v_and_b32_e32 v3, 8, v3
	ds_write_b64 v3, v[1:2] offset:16
.LBB19_21:
	s_or_b64 exec, exec, s[4:5]
	v_cmp_gt_u32_e32 vcc, 2, v0
	s_waitcnt lgkmcnt(0)
	s_barrier
	s_and_saveexec_b64 s[4:5], vcc
	s_cbranch_execz .LBB19_23
; %bb.22:
	v_lshlrev_b32_e32 v1, 3, v5
	ds_read_b64 v[1:2], v1 offset:16
	v_lshl_or_b32 v4, v5, 2, 4
	s_add_i32 s10, s10, 63
	v_and_b32_e32 v5, 1, v5
	s_lshr_b32 s10, s10, 6
	s_waitcnt lgkmcnt(0)
	ds_bpermute_b32 v3, v4, v1
	ds_bpermute_b32 v4, v4, v2
	v_add_u32_e32 v5, 1, v5
	v_cmp_gt_u32_e32 vcc, s10, v5
	s_waitcnt lgkmcnt(0)
	v_add_f64 v[3:4], v[1:2], v[3:4]
	v_cndmask_b32_e32 v2, v2, v4, vcc
	v_cndmask_b32_e32 v1, v1, v3, vcc
.LBB19_23:
	s_or_b64 exec, exec, s[4:5]
.LBB19_24:
	v_cmp_eq_u32_e32 vcc, 0, v0
	s_and_saveexec_b64 s[4:5], vcc
	s_cbranch_execnz .LBB19_26
; %bb.25:
	s_endpgm
.LBB19_26:
	v_add_f64 v[0:1], v[1:2], s[8:9]
	s_lshl_b64 s[4:5], s[6:7], 3
	s_add_u32 s2, s2, s4
	s_addc_u32 s3, s3, s5
	s_cmp_eq_u64 s[0:1], 0
	v_mov_b32_e32 v3, s9
	s_cselect_b64 vcc, -1, 0
	v_mov_b32_e32 v2, 0
	v_cndmask_b32_e32 v1, v1, v3, vcc
	v_mov_b32_e32 v3, s8
	v_cndmask_b32_e32 v0, v0, v3, vcc
	global_store_dwordx2 v2, v[0:1], s[2:3]
	s_endpgm
	.section	.rodata,"a",@progbits
	.p2align	6, 0x0
	.amdhsa_kernel _ZN7rocprim6detail19block_reduce_kernelILb1ELb0ELj8ENS0_21wrapped_reduce_configINS_14default_configEdEEdN6thrust11hip_rocprim26transform_input_iterator_tIdNS5_6detail15normal_iteratorINS5_10device_ptrIdEEEEZ4mainEUldE_EEPddNS5_4plusIdEEEEvT4_mT5_T6_T7_
		.amdhsa_group_segment_fixed_size 32
		.amdhsa_private_segment_fixed_size 0
		.amdhsa_kernarg_size 44
		.amdhsa_user_sgpr_count 6
		.amdhsa_user_sgpr_private_segment_buffer 1
		.amdhsa_user_sgpr_dispatch_ptr 0
		.amdhsa_user_sgpr_queue_ptr 0
		.amdhsa_user_sgpr_kernarg_segment_ptr 1
		.amdhsa_user_sgpr_dispatch_id 0
		.amdhsa_user_sgpr_flat_scratch_init 0
		.amdhsa_user_sgpr_private_segment_size 0
		.amdhsa_uses_dynamic_stack 0
		.amdhsa_system_sgpr_private_segment_wavefront_offset 0
		.amdhsa_system_sgpr_workgroup_id_x 1
		.amdhsa_system_sgpr_workgroup_id_y 0
		.amdhsa_system_sgpr_workgroup_id_z 0
		.amdhsa_system_sgpr_workgroup_info 0
		.amdhsa_system_vgpr_workitem_id 0
		.amdhsa_next_free_vgpr 9
		.amdhsa_next_free_sgpr 15
		.amdhsa_reserve_vcc 1
		.amdhsa_reserve_flat_scratch 0
		.amdhsa_float_round_mode_32 0
		.amdhsa_float_round_mode_16_64 0
		.amdhsa_float_denorm_mode_32 3
		.amdhsa_float_denorm_mode_16_64 3
		.amdhsa_dx10_clamp 1
		.amdhsa_ieee_mode 1
		.amdhsa_fp16_overflow 0
		.amdhsa_exception_fp_ieee_invalid_op 0
		.amdhsa_exception_fp_denorm_src 0
		.amdhsa_exception_fp_ieee_div_zero 0
		.amdhsa_exception_fp_ieee_overflow 0
		.amdhsa_exception_fp_ieee_underflow 0
		.amdhsa_exception_fp_ieee_inexact 0
		.amdhsa_exception_int_div_zero 0
	.end_amdhsa_kernel
	.section	.text._ZN7rocprim6detail19block_reduce_kernelILb1ELb0ELj8ENS0_21wrapped_reduce_configINS_14default_configEdEEdN6thrust11hip_rocprim26transform_input_iterator_tIdNS5_6detail15normal_iteratorINS5_10device_ptrIdEEEEZ4mainEUldE_EEPddNS5_4plusIdEEEEvT4_mT5_T6_T7_,"axG",@progbits,_ZN7rocprim6detail19block_reduce_kernelILb1ELb0ELj8ENS0_21wrapped_reduce_configINS_14default_configEdEEdN6thrust11hip_rocprim26transform_input_iterator_tIdNS5_6detail15normal_iteratorINS5_10device_ptrIdEEEEZ4mainEUldE_EEPddNS5_4plusIdEEEEvT4_mT5_T6_T7_,comdat
.Lfunc_end19:
	.size	_ZN7rocprim6detail19block_reduce_kernelILb1ELb0ELj8ENS0_21wrapped_reduce_configINS_14default_configEdEEdN6thrust11hip_rocprim26transform_input_iterator_tIdNS5_6detail15normal_iteratorINS5_10device_ptrIdEEEEZ4mainEUldE_EEPddNS5_4plusIdEEEEvT4_mT5_T6_T7_, .Lfunc_end19-_ZN7rocprim6detail19block_reduce_kernelILb1ELb0ELj8ENS0_21wrapped_reduce_configINS_14default_configEdEEdN6thrust11hip_rocprim26transform_input_iterator_tIdNS5_6detail15normal_iteratorINS5_10device_ptrIdEEEEZ4mainEUldE_EEPddNS5_4plusIdEEEEvT4_mT5_T6_T7_
                                        ; -- End function
	.section	.AMDGPU.csdata,"",@progbits
; Kernel info:
; codeLenInByte = 1176
; NumSgprs: 19
; NumVgprs: 9
; ScratchSize: 0
; MemoryBound: 0
; FloatMode: 240
; IeeeMode: 1
; LDSByteSize: 32 bytes/workgroup (compile time only)
; SGPRBlocks: 2
; VGPRBlocks: 2
; NumSGPRsForWavesPerEU: 19
; NumVGPRsForWavesPerEU: 9
; Occupancy: 8
; WaveLimiterHint : 0
; COMPUTE_PGM_RSRC2:SCRATCH_EN: 0
; COMPUTE_PGM_RSRC2:USER_SGPR: 6
; COMPUTE_PGM_RSRC2:TRAP_HANDLER: 0
; COMPUTE_PGM_RSRC2:TGID_X_EN: 1
; COMPUTE_PGM_RSRC2:TGID_Y_EN: 0
; COMPUTE_PGM_RSRC2:TGID_Z_EN: 0
; COMPUTE_PGM_RSRC2:TIDIG_COMP_CNT: 0
	.section	.text._ZN7rocprim6detail19block_reduce_kernelILb1ELb0ELj4ENS0_21wrapped_reduce_configINS_14default_configEdEEdN6thrust11hip_rocprim26transform_input_iterator_tIdNS5_6detail15normal_iteratorINS5_10device_ptrIdEEEEZ4mainEUldE_EEPddNS5_4plusIdEEEEvT4_mT5_T6_T7_,"axG",@progbits,_ZN7rocprim6detail19block_reduce_kernelILb1ELb0ELj4ENS0_21wrapped_reduce_configINS_14default_configEdEEdN6thrust11hip_rocprim26transform_input_iterator_tIdNS5_6detail15normal_iteratorINS5_10device_ptrIdEEEEZ4mainEUldE_EEPddNS5_4plusIdEEEEvT4_mT5_T6_T7_,comdat
	.globl	_ZN7rocprim6detail19block_reduce_kernelILb1ELb0ELj4ENS0_21wrapped_reduce_configINS_14default_configEdEEdN6thrust11hip_rocprim26transform_input_iterator_tIdNS5_6detail15normal_iteratorINS5_10device_ptrIdEEEEZ4mainEUldE_EEPddNS5_4plusIdEEEEvT4_mT5_T6_T7_ ; -- Begin function _ZN7rocprim6detail19block_reduce_kernelILb1ELb0ELj4ENS0_21wrapped_reduce_configINS_14default_configEdEEdN6thrust11hip_rocprim26transform_input_iterator_tIdNS5_6detail15normal_iteratorINS5_10device_ptrIdEEEEZ4mainEUldE_EEPddNS5_4plusIdEEEEvT4_mT5_T6_T7_
	.p2align	8
	.type	_ZN7rocprim6detail19block_reduce_kernelILb1ELb0ELj4ENS0_21wrapped_reduce_configINS_14default_configEdEEdN6thrust11hip_rocprim26transform_input_iterator_tIdNS5_6detail15normal_iteratorINS5_10device_ptrIdEEEEZ4mainEUldE_EEPddNS5_4plusIdEEEEvT4_mT5_T6_T7_,@function
_ZN7rocprim6detail19block_reduce_kernelILb1ELb0ELj4ENS0_21wrapped_reduce_configINS_14default_configEdEEdN6thrust11hip_rocprim26transform_input_iterator_tIdNS5_6detail15normal_iteratorINS5_10device_ptrIdEEEEZ4mainEUldE_EEPddNS5_4plusIdEEEEvT4_mT5_T6_T7_: ; @_ZN7rocprim6detail19block_reduce_kernelILb1ELb0ELj4ENS0_21wrapped_reduce_configINS_14default_configEdEEdN6thrust11hip_rocprim26transform_input_iterator_tIdNS5_6detail15normal_iteratorINS5_10device_ptrIdEEEEZ4mainEUldE_EEPddNS5_4plusIdEEEEvT4_mT5_T6_T7_
; %bb.0:
	s_load_dwordx2 s[10:11], s[4:5], 0x0
	s_load_dwordx4 s[0:3], s[4:5], 0x10
	s_load_dwordx2 s[8:9], s[4:5], 0x20
	s_mov_b32 s5, 0
	s_lshl_b32 s4, s6, 7
	s_mov_b32 s7, s5
	s_waitcnt lgkmcnt(0)
	s_lshr_b64 s[12:13], s[0:1], 7
	s_cmp_lg_u64 s[12:13], s[6:7]
	v_mbcnt_lo_u32_b32 v3, -1, 0
	s_cbranch_scc0 .LBB20_6
; %bb.1:
	s_lshl_b64 s[12:13], s[4:5], 3
	s_add_u32 s12, s10, s12
	s_addc_u32 s13, s11, s13
	v_lshlrev_b32_e32 v1, 3, v0
	global_load_dwordx2 v[1:2], v1, s[12:13]
	s_waitcnt vmcnt(0)
	v_and_b32_e32 v5, 0x7fffffff, v2
	v_mov_b32_dpp v4, v1 quad_perm:[1,0,3,2] row_mask:0xf bank_mask:0xf
	s_nop 0
	v_mov_b32_dpp v5, v5 quad_perm:[1,0,3,2] row_mask:0xf bank_mask:0xf
	v_add_f64 v[1:2], |v[1:2]|, v[4:5]
	s_nop 1
	v_mov_b32_dpp v4, v1 quad_perm:[2,3,0,1] row_mask:0xf bank_mask:0xf
	v_mov_b32_dpp v5, v2 quad_perm:[2,3,0,1] row_mask:0xf bank_mask:0xf
	v_add_f64 v[1:2], v[1:2], v[4:5]
	s_nop 1
	v_mov_b32_dpp v4, v1 row_ror:4 row_mask:0xf bank_mask:0xf
	v_mov_b32_dpp v5, v2 row_ror:4 row_mask:0xf bank_mask:0xf
	v_add_f64 v[1:2], v[1:2], v[4:5]
	s_nop 1
	v_mov_b32_dpp v4, v1 row_ror:8 row_mask:0xf bank_mask:0xf
	v_mov_b32_dpp v5, v2 row_ror:8 row_mask:0xf bank_mask:0xf
	v_add_f64 v[1:2], v[1:2], v[4:5]
	s_nop 1
	v_mov_b32_dpp v4, v1 row_bcast:15 row_mask:0xf bank_mask:0xf
	v_mov_b32_dpp v5, v2 row_bcast:15 row_mask:0xf bank_mask:0xf
	v_add_f64 v[1:2], v[1:2], v[4:5]
	s_nop 1
	v_mov_b32_dpp v4, v1 row_bcast:31 row_mask:0xf bank_mask:0xf
	v_mov_b32_dpp v5, v2 row_bcast:31 row_mask:0xf bank_mask:0xf
	v_add_f64 v[1:2], v[1:2], v[4:5]
	v_mbcnt_hi_u32_b32 v5, -1, v3
	v_lshlrev_b32_e32 v4, 2, v5
	v_or_b32_e32 v6, 0xfc, v4
	v_cmp_eq_u32_e32 vcc, 0, v5
	ds_bpermute_b32 v1, v6, v1
	ds_bpermute_b32 v2, v6, v2
	s_and_saveexec_b64 s[12:13], vcc
	s_cbranch_execz .LBB20_3
; %bb.2:
	v_lshrrev_b32_e32 v6, 3, v0
	v_and_b32_e32 v6, 8, v6
	s_waitcnt lgkmcnt(0)
	ds_write_b64 v6, v[1:2]
.LBB20_3:
	s_or_b64 exec, exec, s[12:13]
	v_cmp_gt_u32_e32 vcc, 64, v0
	s_waitcnt lgkmcnt(0)
	s_barrier
	s_and_saveexec_b64 s[12:13], vcc
	s_cbranch_execz .LBB20_5
; %bb.4:
	v_and_b32_e32 v1, 1, v5
	v_lshlrev_b32_e32 v1, 3, v1
	ds_read_b64 v[1:2], v1
	v_or_b32_e32 v5, 4, v4
	s_waitcnt lgkmcnt(0)
	ds_bpermute_b32 v4, v5, v1
	ds_bpermute_b32 v5, v5, v2
	s_waitcnt lgkmcnt(0)
	v_add_f64 v[1:2], v[1:2], v[4:5]
.LBB20_5:
	s_or_b64 exec, exec, s[12:13]
	s_branch .LBB20_24
.LBB20_6:
                                        ; implicit-def: $vgpr1_vgpr2
	s_cbranch_execz .LBB20_24
; %bb.7:
	s_sub_i32 s14, s0, s4
	v_cmp_gt_u32_e32 vcc, s14, v0
                                        ; implicit-def: $vgpr1_vgpr2
	s_and_saveexec_b64 s[12:13], vcc
	s_cbranch_execz .LBB20_9
; %bb.8:
	s_lshl_b64 s[4:5], s[4:5], 3
	s_add_u32 s4, s10, s4
	s_addc_u32 s5, s11, s5
	v_lshlrev_b32_e32 v1, 3, v0
	global_load_dwordx2 v[1:2], v1, s[4:5]
	s_waitcnt vmcnt(0)
	v_and_b32_e32 v2, 0x7fffffff, v2
.LBB20_9:
	s_or_b64 exec, exec, s[12:13]
	v_mbcnt_hi_u32_b32 v5, -1, v3
	v_and_b32_e32 v7, 63, v5
	v_cmp_ne_u32_e32 vcc, 63, v7
	v_addc_co_u32_e32 v3, vcc, 0, v5, vcc
	v_lshlrev_b32_e32 v4, 2, v3
	ds_bpermute_b32 v3, v4, v1
	ds_bpermute_b32 v4, v4, v2
	s_min_u32 s10, s14, 0x80
	v_and_b32_e32 v6, 64, v0
	v_sub_u32_e64 v6, s10, v6 clamp
	v_add_u32_e32 v8, 1, v5
	v_cmp_lt_u32_e32 vcc, v8, v6
	s_and_saveexec_b64 s[4:5], vcc
	s_cbranch_execz .LBB20_11
; %bb.10:
	s_waitcnt lgkmcnt(0)
	v_add_f64 v[1:2], v[1:2], v[3:4]
.LBB20_11:
	s_or_b64 exec, exec, s[4:5]
	v_cmp_gt_u32_e32 vcc, 62, v7
	s_waitcnt lgkmcnt(1)
	v_cndmask_b32_e64 v3, 0, 1, vcc
	v_lshlrev_b32_e32 v3, 1, v3
	s_waitcnt lgkmcnt(0)
	v_add_lshl_u32 v4, v3, v5, 2
	ds_bpermute_b32 v3, v4, v1
	ds_bpermute_b32 v4, v4, v2
	v_add_u32_e32 v8, 2, v5
	v_cmp_lt_u32_e32 vcc, v8, v6
	s_and_saveexec_b64 s[4:5], vcc
	s_cbranch_execz .LBB20_13
; %bb.12:
	s_waitcnt lgkmcnt(0)
	v_add_f64 v[1:2], v[1:2], v[3:4]
.LBB20_13:
	s_or_b64 exec, exec, s[4:5]
	v_cmp_gt_u32_e32 vcc, 60, v7
	s_waitcnt lgkmcnt(1)
	v_cndmask_b32_e64 v3, 0, 1, vcc
	v_lshlrev_b32_e32 v3, 2, v3
	s_waitcnt lgkmcnt(0)
	v_add_lshl_u32 v4, v3, v5, 2
	ds_bpermute_b32 v3, v4, v1
	ds_bpermute_b32 v4, v4, v2
	;; [unrolled: 17-line block ×5, first 2 shown]
	v_add_u32_e32 v7, 32, v5
	v_cmp_lt_u32_e32 vcc, v7, v6
	s_waitcnt lgkmcnt(0)
	v_add_f64 v[3:4], v[1:2], v[3:4]
	v_cndmask_b32_e32 v2, v2, v4, vcc
	v_cndmask_b32_e32 v1, v1, v3, vcc
	v_cmp_eq_u32_e32 vcc, 0, v5
	s_and_saveexec_b64 s[4:5], vcc
	s_cbranch_execz .LBB20_21
; %bb.20:
	v_lshrrev_b32_e32 v3, 3, v0
	v_and_b32_e32 v3, 8, v3
	ds_write_b64 v3, v[1:2] offset:16
.LBB20_21:
	s_or_b64 exec, exec, s[4:5]
	v_cmp_gt_u32_e32 vcc, 2, v0
	s_waitcnt lgkmcnt(0)
	s_barrier
	s_and_saveexec_b64 s[4:5], vcc
	s_cbranch_execz .LBB20_23
; %bb.22:
	v_lshlrev_b32_e32 v1, 3, v5
	ds_read_b64 v[1:2], v1 offset:16
	v_lshl_or_b32 v4, v5, 2, 4
	s_add_i32 s10, s10, 63
	v_and_b32_e32 v5, 1, v5
	s_lshr_b32 s10, s10, 6
	s_waitcnt lgkmcnt(0)
	ds_bpermute_b32 v3, v4, v1
	ds_bpermute_b32 v4, v4, v2
	v_add_u32_e32 v5, 1, v5
	v_cmp_gt_u32_e32 vcc, s10, v5
	s_waitcnt lgkmcnt(0)
	v_add_f64 v[3:4], v[1:2], v[3:4]
	v_cndmask_b32_e32 v2, v2, v4, vcc
	v_cndmask_b32_e32 v1, v1, v3, vcc
.LBB20_23:
	s_or_b64 exec, exec, s[4:5]
.LBB20_24:
	v_cmp_eq_u32_e32 vcc, 0, v0
	s_and_saveexec_b64 s[4:5], vcc
	s_cbranch_execnz .LBB20_26
; %bb.25:
	s_endpgm
.LBB20_26:
	v_add_f64 v[0:1], v[1:2], s[8:9]
	s_lshl_b64 s[4:5], s[6:7], 3
	s_add_u32 s2, s2, s4
	s_addc_u32 s3, s3, s5
	s_cmp_eq_u64 s[0:1], 0
	v_mov_b32_e32 v3, s9
	s_cselect_b64 vcc, -1, 0
	v_mov_b32_e32 v2, 0
	v_cndmask_b32_e32 v1, v1, v3, vcc
	v_mov_b32_e32 v3, s8
	v_cndmask_b32_e32 v0, v0, v3, vcc
	global_store_dwordx2 v2, v[0:1], s[2:3]
	s_endpgm
	.section	.rodata,"a",@progbits
	.p2align	6, 0x0
	.amdhsa_kernel _ZN7rocprim6detail19block_reduce_kernelILb1ELb0ELj4ENS0_21wrapped_reduce_configINS_14default_configEdEEdN6thrust11hip_rocprim26transform_input_iterator_tIdNS5_6detail15normal_iteratorINS5_10device_ptrIdEEEEZ4mainEUldE_EEPddNS5_4plusIdEEEEvT4_mT5_T6_T7_
		.amdhsa_group_segment_fixed_size 32
		.amdhsa_private_segment_fixed_size 0
		.amdhsa_kernarg_size 44
		.amdhsa_user_sgpr_count 6
		.amdhsa_user_sgpr_private_segment_buffer 1
		.amdhsa_user_sgpr_dispatch_ptr 0
		.amdhsa_user_sgpr_queue_ptr 0
		.amdhsa_user_sgpr_kernarg_segment_ptr 1
		.amdhsa_user_sgpr_dispatch_id 0
		.amdhsa_user_sgpr_flat_scratch_init 0
		.amdhsa_user_sgpr_private_segment_size 0
		.amdhsa_uses_dynamic_stack 0
		.amdhsa_system_sgpr_private_segment_wavefront_offset 0
		.amdhsa_system_sgpr_workgroup_id_x 1
		.amdhsa_system_sgpr_workgroup_id_y 0
		.amdhsa_system_sgpr_workgroup_id_z 0
		.amdhsa_system_sgpr_workgroup_info 0
		.amdhsa_system_vgpr_workitem_id 0
		.amdhsa_next_free_vgpr 9
		.amdhsa_next_free_sgpr 15
		.amdhsa_reserve_vcc 1
		.amdhsa_reserve_flat_scratch 0
		.amdhsa_float_round_mode_32 0
		.amdhsa_float_round_mode_16_64 0
		.amdhsa_float_denorm_mode_32 3
		.amdhsa_float_denorm_mode_16_64 3
		.amdhsa_dx10_clamp 1
		.amdhsa_ieee_mode 1
		.amdhsa_fp16_overflow 0
		.amdhsa_exception_fp_ieee_invalid_op 0
		.amdhsa_exception_fp_denorm_src 0
		.amdhsa_exception_fp_ieee_div_zero 0
		.amdhsa_exception_fp_ieee_overflow 0
		.amdhsa_exception_fp_ieee_underflow 0
		.amdhsa_exception_fp_ieee_inexact 0
		.amdhsa_exception_int_div_zero 0
	.end_amdhsa_kernel
	.section	.text._ZN7rocprim6detail19block_reduce_kernelILb1ELb0ELj4ENS0_21wrapped_reduce_configINS_14default_configEdEEdN6thrust11hip_rocprim26transform_input_iterator_tIdNS5_6detail15normal_iteratorINS5_10device_ptrIdEEEEZ4mainEUldE_EEPddNS5_4plusIdEEEEvT4_mT5_T6_T7_,"axG",@progbits,_ZN7rocprim6detail19block_reduce_kernelILb1ELb0ELj4ENS0_21wrapped_reduce_configINS_14default_configEdEEdN6thrust11hip_rocprim26transform_input_iterator_tIdNS5_6detail15normal_iteratorINS5_10device_ptrIdEEEEZ4mainEUldE_EEPddNS5_4plusIdEEEEvT4_mT5_T6_T7_,comdat
.Lfunc_end20:
	.size	_ZN7rocprim6detail19block_reduce_kernelILb1ELb0ELj4ENS0_21wrapped_reduce_configINS_14default_configEdEEdN6thrust11hip_rocprim26transform_input_iterator_tIdNS5_6detail15normal_iteratorINS5_10device_ptrIdEEEEZ4mainEUldE_EEPddNS5_4plusIdEEEEvT4_mT5_T6_T7_, .Lfunc_end20-_ZN7rocprim6detail19block_reduce_kernelILb1ELb0ELj4ENS0_21wrapped_reduce_configINS_14default_configEdEEdN6thrust11hip_rocprim26transform_input_iterator_tIdNS5_6detail15normal_iteratorINS5_10device_ptrIdEEEEZ4mainEUldE_EEPddNS5_4plusIdEEEEvT4_mT5_T6_T7_
                                        ; -- End function
	.section	.AMDGPU.csdata,"",@progbits
; Kernel info:
; codeLenInByte = 1176
; NumSgprs: 19
; NumVgprs: 9
; ScratchSize: 0
; MemoryBound: 0
; FloatMode: 240
; IeeeMode: 1
; LDSByteSize: 32 bytes/workgroup (compile time only)
; SGPRBlocks: 2
; VGPRBlocks: 2
; NumSGPRsForWavesPerEU: 19
; NumVGPRsForWavesPerEU: 9
; Occupancy: 8
; WaveLimiterHint : 0
; COMPUTE_PGM_RSRC2:SCRATCH_EN: 0
; COMPUTE_PGM_RSRC2:USER_SGPR: 6
; COMPUTE_PGM_RSRC2:TRAP_HANDLER: 0
; COMPUTE_PGM_RSRC2:TGID_X_EN: 1
; COMPUTE_PGM_RSRC2:TGID_Y_EN: 0
; COMPUTE_PGM_RSRC2:TGID_Z_EN: 0
; COMPUTE_PGM_RSRC2:TIDIG_COMP_CNT: 0
	.section	.text._ZN7rocprim6detail19block_reduce_kernelILb1ELb0ELj2ENS0_21wrapped_reduce_configINS_14default_configEdEEdN6thrust11hip_rocprim26transform_input_iterator_tIdNS5_6detail15normal_iteratorINS5_10device_ptrIdEEEEZ4mainEUldE_EEPddNS5_4plusIdEEEEvT4_mT5_T6_T7_,"axG",@progbits,_ZN7rocprim6detail19block_reduce_kernelILb1ELb0ELj2ENS0_21wrapped_reduce_configINS_14default_configEdEEdN6thrust11hip_rocprim26transform_input_iterator_tIdNS5_6detail15normal_iteratorINS5_10device_ptrIdEEEEZ4mainEUldE_EEPddNS5_4plusIdEEEEvT4_mT5_T6_T7_,comdat
	.globl	_ZN7rocprim6detail19block_reduce_kernelILb1ELb0ELj2ENS0_21wrapped_reduce_configINS_14default_configEdEEdN6thrust11hip_rocprim26transform_input_iterator_tIdNS5_6detail15normal_iteratorINS5_10device_ptrIdEEEEZ4mainEUldE_EEPddNS5_4plusIdEEEEvT4_mT5_T6_T7_ ; -- Begin function _ZN7rocprim6detail19block_reduce_kernelILb1ELb0ELj2ENS0_21wrapped_reduce_configINS_14default_configEdEEdN6thrust11hip_rocprim26transform_input_iterator_tIdNS5_6detail15normal_iteratorINS5_10device_ptrIdEEEEZ4mainEUldE_EEPddNS5_4plusIdEEEEvT4_mT5_T6_T7_
	.p2align	8
	.type	_ZN7rocprim6detail19block_reduce_kernelILb1ELb0ELj2ENS0_21wrapped_reduce_configINS_14default_configEdEEdN6thrust11hip_rocprim26transform_input_iterator_tIdNS5_6detail15normal_iteratorINS5_10device_ptrIdEEEEZ4mainEUldE_EEPddNS5_4plusIdEEEEvT4_mT5_T6_T7_,@function
_ZN7rocprim6detail19block_reduce_kernelILb1ELb0ELj2ENS0_21wrapped_reduce_configINS_14default_configEdEEdN6thrust11hip_rocprim26transform_input_iterator_tIdNS5_6detail15normal_iteratorINS5_10device_ptrIdEEEEZ4mainEUldE_EEPddNS5_4plusIdEEEEvT4_mT5_T6_T7_: ; @_ZN7rocprim6detail19block_reduce_kernelILb1ELb0ELj2ENS0_21wrapped_reduce_configINS_14default_configEdEEdN6thrust11hip_rocprim26transform_input_iterator_tIdNS5_6detail15normal_iteratorINS5_10device_ptrIdEEEEZ4mainEUldE_EEPddNS5_4plusIdEEEEvT4_mT5_T6_T7_
; %bb.0:
	s_load_dwordx2 s[12:13], s[4:5], 0x0
	s_load_dwordx4 s[8:11], s[4:5], 0x10
	s_load_dwordx2 s[2:3], s[4:5], 0x20
	s_lshl_b32 s0, s6, 8
	s_mov_b32 s1, 0
	s_lshl_b64 s[14:15], s[0:1], 3
	s_waitcnt lgkmcnt(0)
	s_lshr_b64 s[4:5], s[8:9], 8
	s_mov_b32 s7, s1
	s_add_u32 s1, s12, s14
	s_addc_u32 s12, s13, s15
	v_lshlrev_b32_e32 v1, 3, v0
	v_mov_b32_e32 v2, s12
	v_add_co_u32_e32 v5, vcc, s1, v1
	s_cmp_lg_u64 s[4:5], s[6:7]
	v_addc_co_u32_e32 v6, vcc, 0, v2, vcc
	v_mbcnt_lo_u32_b32 v7, -1, 0
	s_cbranch_scc0 .LBB21_6
; %bb.1:
	global_load_dwordx2 v[1:2], v[5:6], off
	global_load_dwordx2 v[3:4], v[5:6], off offset:1024
	s_waitcnt vmcnt(0)
	v_add_f64 v[1:2], |v[1:2]|, |v[3:4]|
	s_nop 1
	v_mov_b32_dpp v3, v1 quad_perm:[1,0,3,2] row_mask:0xf bank_mask:0xf
	v_mov_b32_dpp v4, v2 quad_perm:[1,0,3,2] row_mask:0xf bank_mask:0xf
	v_add_f64 v[1:2], v[1:2], v[3:4]
	s_nop 1
	v_mov_b32_dpp v3, v1 quad_perm:[2,3,0,1] row_mask:0xf bank_mask:0xf
	v_mov_b32_dpp v4, v2 quad_perm:[2,3,0,1] row_mask:0xf bank_mask:0xf
	v_add_f64 v[1:2], v[1:2], v[3:4]
	s_nop 1
	v_mov_b32_dpp v3, v1 row_ror:4 row_mask:0xf bank_mask:0xf
	v_mov_b32_dpp v4, v2 row_ror:4 row_mask:0xf bank_mask:0xf
	v_add_f64 v[1:2], v[1:2], v[3:4]
	s_nop 1
	v_mov_b32_dpp v3, v1 row_ror:8 row_mask:0xf bank_mask:0xf
	v_mov_b32_dpp v4, v2 row_ror:8 row_mask:0xf bank_mask:0xf
	v_add_f64 v[1:2], v[1:2], v[3:4]
	s_nop 1
	v_mov_b32_dpp v3, v1 row_bcast:15 row_mask:0xf bank_mask:0xf
	v_mov_b32_dpp v4, v2 row_bcast:15 row_mask:0xf bank_mask:0xf
	v_add_f64 v[1:2], v[1:2], v[3:4]
	s_nop 1
	v_mov_b32_dpp v3, v1 row_bcast:31 row_mask:0xf bank_mask:0xf
	v_mov_b32_dpp v4, v2 row_bcast:31 row_mask:0xf bank_mask:0xf
	v_add_f64 v[1:2], v[1:2], v[3:4]
	v_mbcnt_hi_u32_b32 v4, -1, v7
	v_lshlrev_b32_e32 v3, 2, v4
	v_or_b32_e32 v8, 0xfc, v3
	v_cmp_eq_u32_e32 vcc, 0, v4
	ds_bpermute_b32 v1, v8, v1
	ds_bpermute_b32 v2, v8, v2
	s_and_saveexec_b64 s[4:5], vcc
	s_cbranch_execz .LBB21_3
; %bb.2:
	v_lshrrev_b32_e32 v8, 3, v0
	v_and_b32_e32 v8, 8, v8
	s_waitcnt lgkmcnt(0)
	ds_write_b64 v8, v[1:2]
.LBB21_3:
	s_or_b64 exec, exec, s[4:5]
	v_cmp_gt_u32_e32 vcc, 64, v0
	s_waitcnt lgkmcnt(0)
	s_barrier
	s_and_saveexec_b64 s[4:5], vcc
	s_cbranch_execz .LBB21_5
; %bb.4:
	v_and_b32_e32 v1, 1, v4
	v_lshlrev_b32_e32 v1, 3, v1
	ds_read_b64 v[1:2], v1
	v_or_b32_e32 v4, 4, v3
	s_waitcnt lgkmcnt(0)
	ds_bpermute_b32 v3, v4, v1
	ds_bpermute_b32 v4, v4, v2
	s_waitcnt lgkmcnt(0)
	v_add_f64 v[1:2], v[1:2], v[3:4]
.LBB21_5:
	s_or_b64 exec, exec, s[4:5]
	s_branch .LBB21_26
.LBB21_6:
                                        ; implicit-def: $vgpr1_vgpr2
	s_cbranch_execz .LBB21_26
; %bb.7:
	s_sub_i32 s4, s8, s0
	v_cmp_gt_u32_e32 vcc, s4, v0
                                        ; implicit-def: $vgpr1_vgpr2_vgpr3_vgpr4
	s_and_saveexec_b64 s[0:1], vcc
	s_cbranch_execz .LBB21_9
; %bb.8:
	global_load_dwordx2 v[1:2], v[5:6], off
	s_waitcnt vmcnt(0)
	v_and_b32_e32 v2, 0x7fffffff, v2
.LBB21_9:
	s_or_b64 exec, exec, s[0:1]
	v_or_b32_e32 v8, 0x80, v0
	v_cmp_gt_u32_e32 vcc, s4, v8
	s_and_saveexec_b64 s[0:1], vcc
	s_cbranch_execz .LBB21_11
; %bb.10:
	global_load_dwordx2 v[3:4], v[5:6], off offset:1024
	s_waitcnt vmcnt(0)
	v_and_b32_e32 v4, 0x7fffffff, v4
.LBB21_11:
	s_or_b64 exec, exec, s[0:1]
	v_add_f64 v[3:4], v[1:2], v[3:4]
	v_mbcnt_hi_u32_b32 v5, -1, v7
	v_and_b32_e32 v7, 63, v5
	v_cmp_ne_u32_e64 s[0:1], 63, v7
	v_addc_co_u32_e64 v6, s[0:1], 0, v5, s[0:1]
	s_min_u32 s4, s4, 0x80
	v_add_u32_e32 v8, 1, v5
	v_cndmask_b32_e32 v2, v2, v4, vcc
	v_cndmask_b32_e32 v1, v1, v3, vcc
	v_lshlrev_b32_e32 v4, 2, v6
	ds_bpermute_b32 v3, v4, v1
	ds_bpermute_b32 v4, v4, v2
	v_and_b32_e32 v6, 64, v0
	v_sub_u32_e64 v6, s4, v6 clamp
	v_cmp_lt_u32_e32 vcc, v8, v6
	s_and_saveexec_b64 s[0:1], vcc
	s_cbranch_execz .LBB21_13
; %bb.12:
	s_waitcnt lgkmcnt(0)
	v_add_f64 v[1:2], v[1:2], v[3:4]
.LBB21_13:
	s_or_b64 exec, exec, s[0:1]
	v_cmp_gt_u32_e32 vcc, 62, v7
	s_waitcnt lgkmcnt(1)
	v_cndmask_b32_e64 v3, 0, 1, vcc
	v_lshlrev_b32_e32 v3, 1, v3
	s_waitcnt lgkmcnt(0)
	v_add_lshl_u32 v4, v3, v5, 2
	ds_bpermute_b32 v3, v4, v1
	ds_bpermute_b32 v4, v4, v2
	v_add_u32_e32 v8, 2, v5
	v_cmp_lt_u32_e32 vcc, v8, v6
	s_and_saveexec_b64 s[0:1], vcc
	s_cbranch_execz .LBB21_15
; %bb.14:
	s_waitcnt lgkmcnt(0)
	v_add_f64 v[1:2], v[1:2], v[3:4]
.LBB21_15:
	s_or_b64 exec, exec, s[0:1]
	v_cmp_gt_u32_e32 vcc, 60, v7
	s_waitcnt lgkmcnt(1)
	v_cndmask_b32_e64 v3, 0, 1, vcc
	v_lshlrev_b32_e32 v3, 2, v3
	s_waitcnt lgkmcnt(0)
	v_add_lshl_u32 v4, v3, v5, 2
	ds_bpermute_b32 v3, v4, v1
	ds_bpermute_b32 v4, v4, v2
	v_add_u32_e32 v8, 4, v5
	;; [unrolled: 17-line block ×5, first 2 shown]
	v_cmp_lt_u32_e32 vcc, v7, v6
	s_waitcnt lgkmcnt(0)
	v_add_f64 v[3:4], v[1:2], v[3:4]
	v_cndmask_b32_e32 v2, v2, v4, vcc
	v_cndmask_b32_e32 v1, v1, v3, vcc
	v_cmp_eq_u32_e32 vcc, 0, v5
	s_and_saveexec_b64 s[0:1], vcc
	s_cbranch_execz .LBB21_23
; %bb.22:
	v_lshrrev_b32_e32 v3, 3, v0
	v_and_b32_e32 v3, 8, v3
	ds_write_b64 v3, v[1:2] offset:16
.LBB21_23:
	s_or_b64 exec, exec, s[0:1]
	v_cmp_gt_u32_e32 vcc, 2, v0
	s_waitcnt lgkmcnt(0)
	s_barrier
	s_and_saveexec_b64 s[0:1], vcc
	s_cbranch_execz .LBB21_25
; %bb.24:
	v_lshlrev_b32_e32 v1, 3, v5
	ds_read_b64 v[1:2], v1 offset:16
	v_lshl_or_b32 v4, v5, 2, 4
	s_add_i32 s4, s4, 63
	v_and_b32_e32 v5, 1, v5
	s_lshr_b32 s4, s4, 6
	s_waitcnt lgkmcnt(0)
	ds_bpermute_b32 v3, v4, v1
	ds_bpermute_b32 v4, v4, v2
	v_add_u32_e32 v5, 1, v5
	v_cmp_gt_u32_e32 vcc, s4, v5
	s_waitcnt lgkmcnt(0)
	v_add_f64 v[3:4], v[1:2], v[3:4]
	v_cndmask_b32_e32 v2, v2, v4, vcc
	v_cndmask_b32_e32 v1, v1, v3, vcc
.LBB21_25:
	s_or_b64 exec, exec, s[0:1]
.LBB21_26:
	v_cmp_eq_u32_e32 vcc, 0, v0
	s_and_saveexec_b64 s[0:1], vcc
	s_cbranch_execnz .LBB21_28
; %bb.27:
	s_endpgm
.LBB21_28:
	v_add_f64 v[0:1], v[1:2], s[2:3]
	s_lshl_b64 s[0:1], s[6:7], 3
	s_add_u32 s0, s10, s0
	s_addc_u32 s1, s11, s1
	s_cmp_eq_u64 s[8:9], 0
	v_mov_b32_e32 v3, s3
	s_cselect_b64 vcc, -1, 0
	v_mov_b32_e32 v2, 0
	v_cndmask_b32_e32 v1, v1, v3, vcc
	v_mov_b32_e32 v3, s2
	v_cndmask_b32_e32 v0, v0, v3, vcc
	global_store_dwordx2 v2, v[0:1], s[0:1]
	s_endpgm
	.section	.rodata,"a",@progbits
	.p2align	6, 0x0
	.amdhsa_kernel _ZN7rocprim6detail19block_reduce_kernelILb1ELb0ELj2ENS0_21wrapped_reduce_configINS_14default_configEdEEdN6thrust11hip_rocprim26transform_input_iterator_tIdNS5_6detail15normal_iteratorINS5_10device_ptrIdEEEEZ4mainEUldE_EEPddNS5_4plusIdEEEEvT4_mT5_T6_T7_
		.amdhsa_group_segment_fixed_size 32
		.amdhsa_private_segment_fixed_size 0
		.amdhsa_kernarg_size 44
		.amdhsa_user_sgpr_count 6
		.amdhsa_user_sgpr_private_segment_buffer 1
		.amdhsa_user_sgpr_dispatch_ptr 0
		.amdhsa_user_sgpr_queue_ptr 0
		.amdhsa_user_sgpr_kernarg_segment_ptr 1
		.amdhsa_user_sgpr_dispatch_id 0
		.amdhsa_user_sgpr_flat_scratch_init 0
		.amdhsa_user_sgpr_private_segment_size 0
		.amdhsa_uses_dynamic_stack 0
		.amdhsa_system_sgpr_private_segment_wavefront_offset 0
		.amdhsa_system_sgpr_workgroup_id_x 1
		.amdhsa_system_sgpr_workgroup_id_y 0
		.amdhsa_system_sgpr_workgroup_id_z 0
		.amdhsa_system_sgpr_workgroup_info 0
		.amdhsa_system_vgpr_workitem_id 0
		.amdhsa_next_free_vgpr 9
		.amdhsa_next_free_sgpr 16
		.amdhsa_reserve_vcc 1
		.amdhsa_reserve_flat_scratch 0
		.amdhsa_float_round_mode_32 0
		.amdhsa_float_round_mode_16_64 0
		.amdhsa_float_denorm_mode_32 3
		.amdhsa_float_denorm_mode_16_64 3
		.amdhsa_dx10_clamp 1
		.amdhsa_ieee_mode 1
		.amdhsa_fp16_overflow 0
		.amdhsa_exception_fp_ieee_invalid_op 0
		.amdhsa_exception_fp_denorm_src 0
		.amdhsa_exception_fp_ieee_div_zero 0
		.amdhsa_exception_fp_ieee_overflow 0
		.amdhsa_exception_fp_ieee_underflow 0
		.amdhsa_exception_fp_ieee_inexact 0
		.amdhsa_exception_int_div_zero 0
	.end_amdhsa_kernel
	.section	.text._ZN7rocprim6detail19block_reduce_kernelILb1ELb0ELj2ENS0_21wrapped_reduce_configINS_14default_configEdEEdN6thrust11hip_rocprim26transform_input_iterator_tIdNS5_6detail15normal_iteratorINS5_10device_ptrIdEEEEZ4mainEUldE_EEPddNS5_4plusIdEEEEvT4_mT5_T6_T7_,"axG",@progbits,_ZN7rocprim6detail19block_reduce_kernelILb1ELb0ELj2ENS0_21wrapped_reduce_configINS_14default_configEdEEdN6thrust11hip_rocprim26transform_input_iterator_tIdNS5_6detail15normal_iteratorINS5_10device_ptrIdEEEEZ4mainEUldE_EEPddNS5_4plusIdEEEEvT4_mT5_T6_T7_,comdat
.Lfunc_end21:
	.size	_ZN7rocprim6detail19block_reduce_kernelILb1ELb0ELj2ENS0_21wrapped_reduce_configINS_14default_configEdEEdN6thrust11hip_rocprim26transform_input_iterator_tIdNS5_6detail15normal_iteratorINS5_10device_ptrIdEEEEZ4mainEUldE_EEPddNS5_4plusIdEEEEvT4_mT5_T6_T7_, .Lfunc_end21-_ZN7rocprim6detail19block_reduce_kernelILb1ELb0ELj2ENS0_21wrapped_reduce_configINS_14default_configEdEEdN6thrust11hip_rocprim26transform_input_iterator_tIdNS5_6detail15normal_iteratorINS5_10device_ptrIdEEEEZ4mainEUldE_EEPddNS5_4plusIdEEEEvT4_mT5_T6_T7_
                                        ; -- End function
	.section	.AMDGPU.csdata,"",@progbits
; Kernel info:
; codeLenInByte = 1248
; NumSgprs: 20
; NumVgprs: 9
; ScratchSize: 0
; MemoryBound: 0
; FloatMode: 240
; IeeeMode: 1
; LDSByteSize: 32 bytes/workgroup (compile time only)
; SGPRBlocks: 2
; VGPRBlocks: 2
; NumSGPRsForWavesPerEU: 20
; NumVGPRsForWavesPerEU: 9
; Occupancy: 8
; WaveLimiterHint : 1
; COMPUTE_PGM_RSRC2:SCRATCH_EN: 0
; COMPUTE_PGM_RSRC2:USER_SGPR: 6
; COMPUTE_PGM_RSRC2:TRAP_HANDLER: 0
; COMPUTE_PGM_RSRC2:TGID_X_EN: 1
; COMPUTE_PGM_RSRC2:TGID_Y_EN: 0
; COMPUTE_PGM_RSRC2:TGID_Z_EN: 0
; COMPUTE_PGM_RSRC2:TIDIG_COMP_CNT: 0
	.section	.text._ZN7rocprim6detail19block_reduce_kernelILb1ELb0ELj1ENS0_21wrapped_reduce_configINS_14default_configEdEEdN6thrust11hip_rocprim26transform_input_iterator_tIdNS5_6detail15normal_iteratorINS5_10device_ptrIdEEEEZ4mainEUldE_EEPddNS5_4plusIdEEEEvT4_mT5_T6_T7_,"axG",@progbits,_ZN7rocprim6detail19block_reduce_kernelILb1ELb0ELj1ENS0_21wrapped_reduce_configINS_14default_configEdEEdN6thrust11hip_rocprim26transform_input_iterator_tIdNS5_6detail15normal_iteratorINS5_10device_ptrIdEEEEZ4mainEUldE_EEPddNS5_4plusIdEEEEvT4_mT5_T6_T7_,comdat
	.globl	_ZN7rocprim6detail19block_reduce_kernelILb1ELb0ELj1ENS0_21wrapped_reduce_configINS_14default_configEdEEdN6thrust11hip_rocprim26transform_input_iterator_tIdNS5_6detail15normal_iteratorINS5_10device_ptrIdEEEEZ4mainEUldE_EEPddNS5_4plusIdEEEEvT4_mT5_T6_T7_ ; -- Begin function _ZN7rocprim6detail19block_reduce_kernelILb1ELb0ELj1ENS0_21wrapped_reduce_configINS_14default_configEdEEdN6thrust11hip_rocprim26transform_input_iterator_tIdNS5_6detail15normal_iteratorINS5_10device_ptrIdEEEEZ4mainEUldE_EEPddNS5_4plusIdEEEEvT4_mT5_T6_T7_
	.p2align	8
	.type	_ZN7rocprim6detail19block_reduce_kernelILb1ELb0ELj1ENS0_21wrapped_reduce_configINS_14default_configEdEEdN6thrust11hip_rocprim26transform_input_iterator_tIdNS5_6detail15normal_iteratorINS5_10device_ptrIdEEEEZ4mainEUldE_EEPddNS5_4plusIdEEEEvT4_mT5_T6_T7_,@function
_ZN7rocprim6detail19block_reduce_kernelILb1ELb0ELj1ENS0_21wrapped_reduce_configINS_14default_configEdEEdN6thrust11hip_rocprim26transform_input_iterator_tIdNS5_6detail15normal_iteratorINS5_10device_ptrIdEEEEZ4mainEUldE_EEPddNS5_4plusIdEEEEvT4_mT5_T6_T7_: ; @_ZN7rocprim6detail19block_reduce_kernelILb1ELb0ELj1ENS0_21wrapped_reduce_configINS_14default_configEdEEdN6thrust11hip_rocprim26transform_input_iterator_tIdNS5_6detail15normal_iteratorINS5_10device_ptrIdEEEEZ4mainEUldE_EEPddNS5_4plusIdEEEEvT4_mT5_T6_T7_
; %bb.0:
	s_load_dwordx2 s[2:3], s[4:5], 0x0
	s_load_dwordx4 s[8:11], s[4:5], 0x10
	s_load_dwordx2 s[12:13], s[4:5], 0x20
	s_lshl_b32 s0, s6, 9
	s_mov_b32 s1, 0
	s_lshl_b64 s[14:15], s[0:1], 3
	s_waitcnt lgkmcnt(0)
	s_lshr_b64 s[4:5], s[8:9], 9
	s_mov_b32 s7, s1
	s_add_u32 s1, s2, s14
	s_addc_u32 s2, s3, s15
	v_lshlrev_b32_e32 v1, 3, v0
	v_mov_b32_e32 v2, s2
	v_add_co_u32_e32 v9, vcc, s1, v1
	s_cmp_lg_u64 s[4:5], s[6:7]
	v_addc_co_u32_e32 v10, vcc, 0, v2, vcc
	v_mbcnt_lo_u32_b32 v11, -1, 0
	s_cbranch_scc0 .LBB22_6
; %bb.1:
	global_load_dwordx2 v[1:2], v[9:10], off
	global_load_dwordx2 v[3:4], v[9:10], off offset:1024
	global_load_dwordx2 v[5:6], v[9:10], off offset:2048
	;; [unrolled: 1-line block ×3, first 2 shown]
	s_waitcnt vmcnt(2)
	v_add_f64 v[1:2], |v[1:2]|, |v[3:4]|
	s_waitcnt vmcnt(1)
	v_add_f64 v[1:2], v[1:2], |v[5:6]|
	s_waitcnt vmcnt(0)
	v_add_f64 v[1:2], v[1:2], |v[7:8]|
	s_nop 1
	v_mov_b32_dpp v3, v1 quad_perm:[1,0,3,2] row_mask:0xf bank_mask:0xf
	v_mov_b32_dpp v4, v2 quad_perm:[1,0,3,2] row_mask:0xf bank_mask:0xf
	v_add_f64 v[1:2], v[1:2], v[3:4]
	s_nop 1
	v_mov_b32_dpp v3, v1 quad_perm:[2,3,0,1] row_mask:0xf bank_mask:0xf
	v_mov_b32_dpp v4, v2 quad_perm:[2,3,0,1] row_mask:0xf bank_mask:0xf
	v_add_f64 v[1:2], v[1:2], v[3:4]
	s_nop 1
	v_mov_b32_dpp v3, v1 row_ror:4 row_mask:0xf bank_mask:0xf
	v_mov_b32_dpp v4, v2 row_ror:4 row_mask:0xf bank_mask:0xf
	v_add_f64 v[1:2], v[1:2], v[3:4]
	s_nop 1
	v_mov_b32_dpp v3, v1 row_ror:8 row_mask:0xf bank_mask:0xf
	v_mov_b32_dpp v4, v2 row_ror:8 row_mask:0xf bank_mask:0xf
	v_add_f64 v[1:2], v[1:2], v[3:4]
	s_nop 1
	v_mov_b32_dpp v3, v1 row_bcast:15 row_mask:0xf bank_mask:0xf
	v_mov_b32_dpp v4, v2 row_bcast:15 row_mask:0xf bank_mask:0xf
	v_add_f64 v[1:2], v[1:2], v[3:4]
	s_nop 1
	v_mov_b32_dpp v3, v1 row_bcast:31 row_mask:0xf bank_mask:0xf
	v_mov_b32_dpp v4, v2 row_bcast:31 row_mask:0xf bank_mask:0xf
	v_add_f64 v[1:2], v[1:2], v[3:4]
	v_mbcnt_hi_u32_b32 v4, -1, v11
	v_lshlrev_b32_e32 v3, 2, v4
	v_or_b32_e32 v5, 0xfc, v3
	v_cmp_eq_u32_e32 vcc, 0, v4
	ds_bpermute_b32 v1, v5, v1
	ds_bpermute_b32 v2, v5, v2
	s_and_saveexec_b64 s[2:3], vcc
	s_cbranch_execz .LBB22_3
; %bb.2:
	v_lshrrev_b32_e32 v5, 3, v0
	v_and_b32_e32 v5, 8, v5
	s_waitcnt lgkmcnt(0)
	ds_write_b64 v5, v[1:2]
.LBB22_3:
	s_or_b64 exec, exec, s[2:3]
	v_cmp_gt_u32_e32 vcc, 64, v0
	s_waitcnt lgkmcnt(0)
	s_barrier
	s_and_saveexec_b64 s[2:3], vcc
	s_cbranch_execz .LBB22_5
; %bb.4:
	v_and_b32_e32 v1, 1, v4
	v_lshlrev_b32_e32 v1, 3, v1
	ds_read_b64 v[1:2], v1
	v_or_b32_e32 v4, 4, v3
	s_waitcnt lgkmcnt(0)
	ds_bpermute_b32 v3, v4, v1
	ds_bpermute_b32 v4, v4, v2
	s_waitcnt lgkmcnt(0)
	v_add_f64 v[1:2], v[1:2], v[3:4]
.LBB22_5:
	s_or_b64 exec, exec, s[2:3]
	s_branch .LBB22_30
.LBB22_6:
                                        ; implicit-def: $vgpr1_vgpr2
	s_cbranch_execz .LBB22_30
; %bb.7:
	s_sub_i32 s14, s8, s0
	v_cmp_gt_u32_e32 vcc, s14, v0
                                        ; implicit-def: $vgpr1_vgpr2_vgpr3_vgpr4_vgpr5_vgpr6_vgpr7_vgpr8
	s_and_saveexec_b64 s[0:1], vcc
	s_cbranch_execz .LBB22_9
; %bb.8:
	global_load_dwordx2 v[1:2], v[9:10], off
	s_waitcnt vmcnt(0)
	v_and_b32_e32 v2, 0x7fffffff, v2
.LBB22_9:
	s_or_b64 exec, exec, s[0:1]
	v_or_b32_e32 v12, 0x80, v0
	v_cmp_gt_u32_e32 vcc, s14, v12
	s_and_saveexec_b64 s[0:1], vcc
	s_cbranch_execz .LBB22_11
; %bb.10:
	global_load_dwordx2 v[3:4], v[9:10], off offset:1024
	s_waitcnt vmcnt(0)
	v_and_b32_e32 v4, 0x7fffffff, v4
.LBB22_11:
	s_or_b64 exec, exec, s[0:1]
	v_or_b32_e32 v12, 0x100, v0
	v_cmp_gt_u32_e64 s[2:3], s14, v12
	s_and_saveexec_b64 s[0:1], s[2:3]
	s_cbranch_execz .LBB22_13
; %bb.12:
	global_load_dwordx2 v[5:6], v[9:10], off offset:2048
	s_waitcnt vmcnt(0)
	v_and_b32_e32 v6, 0x7fffffff, v6
.LBB22_13:
	s_or_b64 exec, exec, s[0:1]
	v_or_b32_e32 v12, 0x180, v0
	v_cmp_gt_u32_e64 s[0:1], s14, v12
	s_and_saveexec_b64 s[4:5], s[0:1]
	s_cbranch_execz .LBB22_15
; %bb.14:
	global_load_dwordx2 v[7:8], v[9:10], off offset:3072
	s_waitcnt vmcnt(0)
	v_and_b32_e32 v8, 0x7fffffff, v8
.LBB22_15:
	s_or_b64 exec, exec, s[4:5]
	v_add_f64 v[3:4], v[1:2], v[3:4]
	v_cndmask_b32_e32 v2, v2, v4, vcc
	v_cndmask_b32_e32 v1, v1, v3, vcc
	v_add_f64 v[3:4], v[5:6], v[1:2]
	v_mbcnt_hi_u32_b32 v5, -1, v11
	v_cndmask_b32_e64 v2, v2, v4, s[2:3]
	v_cndmask_b32_e64 v1, v1, v3, s[2:3]
	v_add_f64 v[3:4], v[7:8], v[1:2]
	v_and_b32_e32 v7, 63, v5
	v_cmp_ne_u32_e32 vcc, 63, v7
	v_addc_co_u32_e32 v6, vcc, 0, v5, vcc
	v_lshlrev_b32_e32 v6, 2, v6
	s_min_u32 s2, s14, 0x80
	v_add_u32_e32 v8, 1, v5
	v_cndmask_b32_e64 v2, v2, v4, s[0:1]
	v_cndmask_b32_e64 v1, v1, v3, s[0:1]
	ds_bpermute_b32 v3, v6, v1
	ds_bpermute_b32 v4, v6, v2
	v_and_b32_e32 v6, 64, v0
	v_sub_u32_e64 v6, s2, v6 clamp
	v_cmp_lt_u32_e32 vcc, v8, v6
	s_and_saveexec_b64 s[0:1], vcc
	s_cbranch_execz .LBB22_17
; %bb.16:
	s_waitcnt lgkmcnt(0)
	v_add_f64 v[1:2], v[1:2], v[3:4]
.LBB22_17:
	s_or_b64 exec, exec, s[0:1]
	v_cmp_gt_u32_e32 vcc, 62, v7
	s_waitcnt lgkmcnt(1)
	v_cndmask_b32_e64 v3, 0, 1, vcc
	v_lshlrev_b32_e32 v3, 1, v3
	s_waitcnt lgkmcnt(0)
	v_add_lshl_u32 v4, v3, v5, 2
	ds_bpermute_b32 v3, v4, v1
	ds_bpermute_b32 v4, v4, v2
	v_add_u32_e32 v8, 2, v5
	v_cmp_lt_u32_e32 vcc, v8, v6
	s_and_saveexec_b64 s[0:1], vcc
	s_cbranch_execz .LBB22_19
; %bb.18:
	s_waitcnt lgkmcnt(0)
	v_add_f64 v[1:2], v[1:2], v[3:4]
.LBB22_19:
	s_or_b64 exec, exec, s[0:1]
	v_cmp_gt_u32_e32 vcc, 60, v7
	s_waitcnt lgkmcnt(1)
	v_cndmask_b32_e64 v3, 0, 1, vcc
	v_lshlrev_b32_e32 v3, 2, v3
	s_waitcnt lgkmcnt(0)
	v_add_lshl_u32 v4, v3, v5, 2
	ds_bpermute_b32 v3, v4, v1
	ds_bpermute_b32 v4, v4, v2
	v_add_u32_e32 v8, 4, v5
	;; [unrolled: 17-line block ×5, first 2 shown]
	v_cmp_lt_u32_e32 vcc, v7, v6
	s_waitcnt lgkmcnt(0)
	v_add_f64 v[3:4], v[1:2], v[3:4]
	v_cndmask_b32_e32 v2, v2, v4, vcc
	v_cndmask_b32_e32 v1, v1, v3, vcc
	v_cmp_eq_u32_e32 vcc, 0, v5
	s_and_saveexec_b64 s[0:1], vcc
	s_cbranch_execz .LBB22_27
; %bb.26:
	v_lshrrev_b32_e32 v3, 3, v0
	v_and_b32_e32 v3, 8, v3
	ds_write_b64 v3, v[1:2] offset:16
.LBB22_27:
	s_or_b64 exec, exec, s[0:1]
	v_cmp_gt_u32_e32 vcc, 2, v0
	s_waitcnt lgkmcnt(0)
	s_barrier
	s_and_saveexec_b64 s[0:1], vcc
	s_cbranch_execz .LBB22_29
; %bb.28:
	v_lshlrev_b32_e32 v1, 3, v5
	ds_read_b64 v[1:2], v1 offset:16
	v_lshl_or_b32 v4, v5, 2, 4
	s_add_i32 s2, s2, 63
	v_and_b32_e32 v5, 1, v5
	s_lshr_b32 s2, s2, 6
	s_waitcnt lgkmcnt(0)
	ds_bpermute_b32 v3, v4, v1
	ds_bpermute_b32 v4, v4, v2
	v_add_u32_e32 v5, 1, v5
	v_cmp_gt_u32_e32 vcc, s2, v5
	s_waitcnt lgkmcnt(0)
	v_add_f64 v[3:4], v[1:2], v[3:4]
	v_cndmask_b32_e32 v2, v2, v4, vcc
	v_cndmask_b32_e32 v1, v1, v3, vcc
.LBB22_29:
	s_or_b64 exec, exec, s[0:1]
.LBB22_30:
	v_cmp_eq_u32_e32 vcc, 0, v0
	s_and_saveexec_b64 s[0:1], vcc
	s_cbranch_execnz .LBB22_32
; %bb.31:
	s_endpgm
.LBB22_32:
	v_add_f64 v[0:1], v[1:2], s[12:13]
	s_lshl_b64 s[0:1], s[6:7], 3
	s_add_u32 s0, s10, s0
	s_addc_u32 s1, s11, s1
	s_cmp_eq_u64 s[8:9], 0
	v_mov_b32_e32 v3, s13
	s_cselect_b64 vcc, -1, 0
	v_mov_b32_e32 v2, 0
	v_cndmask_b32_e32 v1, v1, v3, vcc
	v_mov_b32_e32 v3, s12
	v_cndmask_b32_e32 v0, v0, v3, vcc
	global_store_dwordx2 v2, v[0:1], s[0:1]
	s_endpgm
	.section	.rodata,"a",@progbits
	.p2align	6, 0x0
	.amdhsa_kernel _ZN7rocprim6detail19block_reduce_kernelILb1ELb0ELj1ENS0_21wrapped_reduce_configINS_14default_configEdEEdN6thrust11hip_rocprim26transform_input_iterator_tIdNS5_6detail15normal_iteratorINS5_10device_ptrIdEEEEZ4mainEUldE_EEPddNS5_4plusIdEEEEvT4_mT5_T6_T7_
		.amdhsa_group_segment_fixed_size 32
		.amdhsa_private_segment_fixed_size 0
		.amdhsa_kernarg_size 44
		.amdhsa_user_sgpr_count 6
		.amdhsa_user_sgpr_private_segment_buffer 1
		.amdhsa_user_sgpr_dispatch_ptr 0
		.amdhsa_user_sgpr_queue_ptr 0
		.amdhsa_user_sgpr_kernarg_segment_ptr 1
		.amdhsa_user_sgpr_dispatch_id 0
		.amdhsa_user_sgpr_flat_scratch_init 0
		.amdhsa_user_sgpr_private_segment_size 0
		.amdhsa_uses_dynamic_stack 0
		.amdhsa_system_sgpr_private_segment_wavefront_offset 0
		.amdhsa_system_sgpr_workgroup_id_x 1
		.amdhsa_system_sgpr_workgroup_id_y 0
		.amdhsa_system_sgpr_workgroup_id_z 0
		.amdhsa_system_sgpr_workgroup_info 0
		.amdhsa_system_vgpr_workitem_id 0
		.amdhsa_next_free_vgpr 13
		.amdhsa_next_free_sgpr 16
		.amdhsa_reserve_vcc 1
		.amdhsa_reserve_flat_scratch 0
		.amdhsa_float_round_mode_32 0
		.amdhsa_float_round_mode_16_64 0
		.amdhsa_float_denorm_mode_32 3
		.amdhsa_float_denorm_mode_16_64 3
		.amdhsa_dx10_clamp 1
		.amdhsa_ieee_mode 1
		.amdhsa_fp16_overflow 0
		.amdhsa_exception_fp_ieee_invalid_op 0
		.amdhsa_exception_fp_denorm_src 0
		.amdhsa_exception_fp_ieee_div_zero 0
		.amdhsa_exception_fp_ieee_overflow 0
		.amdhsa_exception_fp_ieee_underflow 0
		.amdhsa_exception_fp_ieee_inexact 0
		.amdhsa_exception_int_div_zero 0
	.end_amdhsa_kernel
	.section	.text._ZN7rocprim6detail19block_reduce_kernelILb1ELb0ELj1ENS0_21wrapped_reduce_configINS_14default_configEdEEdN6thrust11hip_rocprim26transform_input_iterator_tIdNS5_6detail15normal_iteratorINS5_10device_ptrIdEEEEZ4mainEUldE_EEPddNS5_4plusIdEEEEvT4_mT5_T6_T7_,"axG",@progbits,_ZN7rocprim6detail19block_reduce_kernelILb1ELb0ELj1ENS0_21wrapped_reduce_configINS_14default_configEdEEdN6thrust11hip_rocprim26transform_input_iterator_tIdNS5_6detail15normal_iteratorINS5_10device_ptrIdEEEEZ4mainEUldE_EEPddNS5_4plusIdEEEEvT4_mT5_T6_T7_,comdat
.Lfunc_end22:
	.size	_ZN7rocprim6detail19block_reduce_kernelILb1ELb0ELj1ENS0_21wrapped_reduce_configINS_14default_configEdEEdN6thrust11hip_rocprim26transform_input_iterator_tIdNS5_6detail15normal_iteratorINS5_10device_ptrIdEEEEZ4mainEUldE_EEPddNS5_4plusIdEEEEvT4_mT5_T6_T7_, .Lfunc_end22-_ZN7rocprim6detail19block_reduce_kernelILb1ELb0ELj1ENS0_21wrapped_reduce_configINS_14default_configEdEEdN6thrust11hip_rocprim26transform_input_iterator_tIdNS5_6detail15normal_iteratorINS5_10device_ptrIdEEEEZ4mainEUldE_EEPddNS5_4plusIdEEEEvT4_mT5_T6_T7_
                                        ; -- End function
	.section	.AMDGPU.csdata,"",@progbits
; Kernel info:
; codeLenInByte = 1424
; NumSgprs: 20
; NumVgprs: 13
; ScratchSize: 0
; MemoryBound: 0
; FloatMode: 240
; IeeeMode: 1
; LDSByteSize: 32 bytes/workgroup (compile time only)
; SGPRBlocks: 2
; VGPRBlocks: 3
; NumSGPRsForWavesPerEU: 20
; NumVGPRsForWavesPerEU: 13
; Occupancy: 8
; WaveLimiterHint : 1
; COMPUTE_PGM_RSRC2:SCRATCH_EN: 0
; COMPUTE_PGM_RSRC2:USER_SGPR: 6
; COMPUTE_PGM_RSRC2:TRAP_HANDLER: 0
; COMPUTE_PGM_RSRC2:TGID_X_EN: 1
; COMPUTE_PGM_RSRC2:TGID_Y_EN: 0
; COMPUTE_PGM_RSRC2:TGID_Z_EN: 0
; COMPUTE_PGM_RSRC2:TIDIG_COMP_CNT: 0
	.type	__hip_cuid_76d0c77c0d8c733c,@object ; @__hip_cuid_76d0c77c0d8c733c
	.section	.bss,"aw",@nobits
	.globl	__hip_cuid_76d0c77c0d8c733c
__hip_cuid_76d0c77c0d8c733c:
	.byte	0                               ; 0x0
	.size	__hip_cuid_76d0c77c0d8c733c, 1

	.ident	"AMD clang version 19.0.0git (https://github.com/RadeonOpenCompute/llvm-project roc-6.4.0 25133 c7fe45cf4b819c5991fe208aaa96edf142730f1d)"
	.section	".note.GNU-stack","",@progbits
	.addrsig
	.addrsig_sym __hip_cuid_76d0c77c0d8c733c
	.amdgpu_metadata
---
amdhsa.kernels:
  - .args:
      - .offset:         0
        .size:           16
        .value_kind:     by_value
      - .offset:         16
        .size:           8
        .value_kind:     by_value
      - .offset:         24
        .size:           8
        .value_kind:     by_value
    .group_segment_fixed_size: 0
    .kernarg_segment_align: 8
    .kernarg_segment_size: 32
    .language:       OpenCL C
    .language_version:
      - 2
      - 0
    .max_flat_workgroup_size: 256
    .name:           _ZN6thrust11hip_rocprim14__parallel_for6kernelILj256ENS0_20__uninitialized_fill7functorINS_10device_ptrIdEEdEEmLj1EEEvT0_T1_S9_
    .private_segment_fixed_size: 0
    .sgpr_count:     20
    .sgpr_spill_count: 0
    .symbol:         _ZN6thrust11hip_rocprim14__parallel_for6kernelILj256ENS0_20__uninitialized_fill7functorINS_10device_ptrIdEEdEEmLj1EEEvT0_T1_S9_.kd
    .uniform_work_group_size: 1
    .uses_dynamic_stack: false
    .vgpr_count:     5
    .vgpr_spill_count: 0
    .wavefront_size: 64
  - .args:
      - .offset:         0
        .size:           32
        .value_kind:     by_value
      - .offset:         32
        .size:           8
        .value_kind:     by_value
      - .offset:         40
        .size:           8
        .value_kind:     by_value
    .group_segment_fixed_size: 0
    .kernarg_segment_align: 8
    .kernarg_segment_size: 48
    .language:       OpenCL C
    .language_version:
      - 2
      - 0
    .max_flat_workgroup_size: 256
    .name:           _ZN6thrust11hip_rocprim14__parallel_for6kernelILj256ENS0_11__transform17unary_transform_fINS_17counting_iteratorIlNS_11use_defaultES6_S6_EENS_6detail15normal_iteratorINS_10device_ptrIdEEEENS3_14no_stencil_tagEZNS0_6fill_nINS0_5par_tESC_ldEET0_RNS0_16execution_policyIT_EESG_T1_RKT2_EUllE_NS3_21always_true_predicateEEElLj1EEEvSG_SL_SL_
    .private_segment_fixed_size: 0
    .sgpr_count:     16
    .sgpr_spill_count: 0
    .symbol:         _ZN6thrust11hip_rocprim14__parallel_for6kernelILj256ENS0_11__transform17unary_transform_fINS_17counting_iteratorIlNS_11use_defaultES6_S6_EENS_6detail15normal_iteratorINS_10device_ptrIdEEEENS3_14no_stencil_tagEZNS0_6fill_nINS0_5par_tESC_ldEET0_RNS0_16execution_policyIT_EESG_T1_RKT2_EUllE_NS3_21always_true_predicateEEElLj1EEEvSG_SL_SL_.kd
    .uniform_work_group_size: 1
    .uses_dynamic_stack: false
    .vgpr_count:     4
    .vgpr_spill_count: 0
    .wavefront_size: 64
  - .args:
      - .offset:         0
        .size:           32
        .value_kind:     by_value
      - .offset:         32
        .size:           8
        .value_kind:     by_value
      - .offset:         40
        .size:           8
        .value_kind:     by_value
    .group_segment_fixed_size: 0
    .kernarg_segment_align: 8
    .kernarg_segment_size: 48
    .language:       OpenCL C
    .language_version:
      - 2
      - 0
    .max_flat_workgroup_size: 256
    .name:           _ZN6thrust11hip_rocprim14__parallel_for6kernelILj256ENS0_10for_each_fINS_12zip_iteratorINS_5tupleINS_6detail15normal_iteratorINS_10device_ptrIdEEEESA_SA_NS_9null_typeESB_SB_SB_SB_SB_SB_EEEENS6_16wrapped_functionIZ4mainEUlNS5_IRdddSB_SB_SB_SB_SB_SB_SB_EEE_vEEEElLj1EEEvT0_T1_SL_
    .private_segment_fixed_size: 0
    .sgpr_count:     16
    .sgpr_spill_count: 0
    .symbol:         _ZN6thrust11hip_rocprim14__parallel_for6kernelILj256ENS0_10for_each_fINS_12zip_iteratorINS_5tupleINS_6detail15normal_iteratorINS_10device_ptrIdEEEESA_SA_NS_9null_typeESB_SB_SB_SB_SB_SB_EEEENS6_16wrapped_functionIZ4mainEUlNS5_IRdddSB_SB_SB_SB_SB_SB_SB_EEE_vEEEElLj1EEEvT0_T1_SL_.kd
    .uniform_work_group_size: 1
    .uses_dynamic_stack: false
    .vgpr_count:     10
    .vgpr_spill_count: 0
    .wavefront_size: 64
  - .args:
      - .address_space:  global
        .offset:         0
        .size:           8
        .value_kind:     global_buffer
      - .offset:         8
        .size:           8
        .value_kind:     by_value
      - .address_space:  global
        .offset:         16
        .size:           8
        .value_kind:     global_buffer
      - .offset:         24
        .size:           8
        .value_kind:     by_value
      - .offset:         32
        .size:           1
        .value_kind:     by_value
    .group_segment_fixed_size: 32
    .kernarg_segment_align: 8
    .kernarg_segment_size: 36
    .language:       OpenCL C
    .language_version:
      - 2
      - 0
    .max_flat_workgroup_size: 128
    .name:           _ZN7rocprim6detail19block_reduce_kernelILb0ELb1ELj1ENS0_21wrapped_reduce_configINS_14default_configEdEEdPdS5_dN6thrust4plusIdEEEEvT4_mT5_T6_T7_
    .private_segment_fixed_size: 0
    .sgpr_count:     20
    .sgpr_spill_count: 0
    .symbol:         _ZN7rocprim6detail19block_reduce_kernelILb0ELb1ELj1ENS0_21wrapped_reduce_configINS_14default_configEdEEdPdS5_dN6thrust4plusIdEEEEvT4_mT5_T6_T7_.kd
    .uniform_work_group_size: 1
    .uses_dynamic_stack: false
    .vgpr_count:     13
    .vgpr_spill_count: 0
    .wavefront_size: 64
  - .args:
      - .address_space:  global
        .offset:         0
        .size:           8
        .value_kind:     global_buffer
      - .offset:         8
        .size:           8
        .value_kind:     by_value
      - .address_space:  global
        .offset:         16
        .size:           8
        .value_kind:     global_buffer
      - .offset:         24
        .size:           8
        .value_kind:     by_value
      - .offset:         32
        .size:           1
        .value_kind:     by_value
    .group_segment_fixed_size: 32
    .kernarg_segment_align: 8
    .kernarg_segment_size: 36
    .language:       OpenCL C
    .language_version:
      - 2
      - 0
    .max_flat_workgroup_size: 128
    .name:           _ZN7rocprim6detail19block_reduce_kernelILb1ELb1ELj2ENS0_21wrapped_reduce_configINS_14default_configEdEEdPdS5_dN6thrust4plusIdEEEEvT4_mT5_T6_T7_
    .private_segment_fixed_size: 0
    .sgpr_count:     29
    .sgpr_spill_count: 0
    .symbol:         _ZN7rocprim6detail19block_reduce_kernelILb1ELb1ELj2ENS0_21wrapped_reduce_configINS_14default_configEdEEdPdS5_dN6thrust4plusIdEEEEvT4_mT5_T6_T7_.kd
    .uniform_work_group_size: 1
    .uses_dynamic_stack: false
    .vgpr_count:     22
    .vgpr_spill_count: 0
    .wavefront_size: 64
  - .args:
      - .address_space:  global
        .offset:         0
        .size:           8
        .value_kind:     global_buffer
      - .offset:         8
        .size:           8
        .value_kind:     by_value
      - .address_space:  global
        .offset:         16
        .size:           8
        .value_kind:     global_buffer
      - .offset:         24
        .size:           8
        .value_kind:     by_value
      - .offset:         32
        .size:           1
        .value_kind:     by_value
    .group_segment_fixed_size: 32
    .kernarg_segment_align: 8
    .kernarg_segment_size: 36
    .language:       OpenCL C
    .language_version:
      - 2
      - 0
    .max_flat_workgroup_size: 128
    .name:           _ZN7rocprim6detail19block_reduce_kernelILb1ELb1ELj4ENS0_21wrapped_reduce_configINS_14default_configEdEEdPdS5_dN6thrust4plusIdEEEEvT4_mT5_T6_T7_
    .private_segment_fixed_size: 0
    .sgpr_count:     48
    .sgpr_spill_count: 0
    .symbol:         _ZN7rocprim6detail19block_reduce_kernelILb1ELb1ELj4ENS0_21wrapped_reduce_configINS_14default_configEdEEdPdS5_dN6thrust4plusIdEEEEvT4_mT5_T6_T7_.kd
    .uniform_work_group_size: 1
    .uses_dynamic_stack: false
    .vgpr_count:     36
    .vgpr_spill_count: 0
    .wavefront_size: 64
  - .args:
      - .address_space:  global
        .offset:         0
        .size:           8
        .value_kind:     global_buffer
      - .offset:         8
        .size:           8
        .value_kind:     by_value
      - .address_space:  global
        .offset:         16
        .size:           8
        .value_kind:     global_buffer
      - .offset:         24
        .size:           8
        .value_kind:     by_value
      - .offset:         32
        .size:           1
        .value_kind:     by_value
    .group_segment_fixed_size: 32
    .kernarg_segment_align: 8
    .kernarg_segment_size: 36
    .language:       OpenCL C
    .language_version:
      - 2
      - 0
    .max_flat_workgroup_size: 128
    .name:           _ZN7rocprim6detail19block_reduce_kernelILb1ELb1ELj8ENS0_21wrapped_reduce_configINS_14default_configEdEEdPdS5_dN6thrust4plusIdEEEEvT4_mT5_T6_T7_
    .private_segment_fixed_size: 0
    .sgpr_count:     78
    .sgpr_spill_count: 0
    .symbol:         _ZN7rocprim6detail19block_reduce_kernelILb1ELb1ELj8ENS0_21wrapped_reduce_configINS_14default_configEdEEdPdS5_dN6thrust4plusIdEEEEvT4_mT5_T6_T7_.kd
    .uniform_work_group_size: 1
    .uses_dynamic_stack: false
    .vgpr_count:     68
    .vgpr_spill_count: 0
    .wavefront_size: 64
  - .args:
      - .address_space:  global
        .offset:         0
        .size:           8
        .value_kind:     global_buffer
      - .offset:         8
        .size:           8
        .value_kind:     by_value
      - .address_space:  global
        .offset:         16
        .size:           8
        .value_kind:     global_buffer
      - .offset:         24
        .size:           8
        .value_kind:     by_value
      - .offset:         32
        .size:           1
        .value_kind:     by_value
    .group_segment_fixed_size: 32
    .kernarg_segment_align: 8
    .kernarg_segment_size: 36
    .language:       OpenCL C
    .language_version:
      - 2
      - 0
    .max_flat_workgroup_size: 128
    .name:           _ZN7rocprim6detail19block_reduce_kernelILb1ELb1ELj16ENS0_21wrapped_reduce_configINS_14default_configEdEEdPdS5_dN6thrust4plusIdEEEEvT4_mT5_T6_T7_
    .private_segment_fixed_size: 0
    .sgpr_count:     100
    .sgpr_spill_count: 44
    .symbol:         _ZN7rocprim6detail19block_reduce_kernelILb1ELb1ELj16ENS0_21wrapped_reduce_configINS_14default_configEdEEdPdS5_dN6thrust4plusIdEEEEvT4_mT5_T6_T7_.kd
    .uniform_work_group_size: 1
    .uses_dynamic_stack: false
    .vgpr_count:     133
    .vgpr_spill_count: 0
    .wavefront_size: 64
  - .args:
      - .address_space:  global
        .offset:         0
        .size:           8
        .value_kind:     global_buffer
      - .offset:         8
        .size:           8
        .value_kind:     by_value
      - .address_space:  global
        .offset:         16
        .size:           8
        .value_kind:     global_buffer
      - .offset:         24
        .size:           8
        .value_kind:     by_value
      - .offset:         32
        .size:           1
        .value_kind:     by_value
    .group_segment_fixed_size: 32
    .kernarg_segment_align: 8
    .kernarg_segment_size: 36
    .language:       OpenCL C
    .language_version:
      - 2
      - 0
    .max_flat_workgroup_size: 128
    .name:           _ZN7rocprim6detail19block_reduce_kernelILb1ELb0ELj16ENS0_21wrapped_reduce_configINS_14default_configEdEEdPdS5_dN6thrust4plusIdEEEEvT4_mT5_T6_T7_
    .private_segment_fixed_size: 0
    .sgpr_count:     20
    .sgpr_spill_count: 0
    .symbol:         _ZN7rocprim6detail19block_reduce_kernelILb1ELb0ELj16ENS0_21wrapped_reduce_configINS_14default_configEdEEdPdS5_dN6thrust4plusIdEEEEvT4_mT5_T6_T7_.kd
    .uniform_work_group_size: 1
    .uses_dynamic_stack: false
    .vgpr_count:     9
    .vgpr_spill_count: 0
    .wavefront_size: 64
  - .args:
      - .address_space:  global
        .offset:         0
        .size:           8
        .value_kind:     global_buffer
      - .offset:         8
        .size:           8
        .value_kind:     by_value
      - .address_space:  global
        .offset:         16
        .size:           8
        .value_kind:     global_buffer
      - .offset:         24
        .size:           8
        .value_kind:     by_value
      - .offset:         32
        .size:           1
        .value_kind:     by_value
    .group_segment_fixed_size: 32
    .kernarg_segment_align: 8
    .kernarg_segment_size: 36
    .language:       OpenCL C
    .language_version:
      - 2
      - 0
    .max_flat_workgroup_size: 128
    .name:           _ZN7rocprim6detail19block_reduce_kernelILb1ELb0ELj8ENS0_21wrapped_reduce_configINS_14default_configEdEEdPdS5_dN6thrust4plusIdEEEEvT4_mT5_T6_T7_
    .private_segment_fixed_size: 0
    .sgpr_count:     20
    .sgpr_spill_count: 0
    .symbol:         _ZN7rocprim6detail19block_reduce_kernelILb1ELb0ELj8ENS0_21wrapped_reduce_configINS_14default_configEdEEdPdS5_dN6thrust4plusIdEEEEvT4_mT5_T6_T7_.kd
    .uniform_work_group_size: 1
    .uses_dynamic_stack: false
    .vgpr_count:     9
    .vgpr_spill_count: 0
    .wavefront_size: 64
  - .args:
      - .address_space:  global
        .offset:         0
        .size:           8
        .value_kind:     global_buffer
      - .offset:         8
        .size:           8
        .value_kind:     by_value
      - .address_space:  global
        .offset:         16
        .size:           8
        .value_kind:     global_buffer
      - .offset:         24
        .size:           8
        .value_kind:     by_value
      - .offset:         32
        .size:           1
        .value_kind:     by_value
    .group_segment_fixed_size: 32
    .kernarg_segment_align: 8
    .kernarg_segment_size: 36
    .language:       OpenCL C
    .language_version:
      - 2
      - 0
    .max_flat_workgroup_size: 128
    .name:           _ZN7rocprim6detail19block_reduce_kernelILb1ELb0ELj4ENS0_21wrapped_reduce_configINS_14default_configEdEEdPdS5_dN6thrust4plusIdEEEEvT4_mT5_T6_T7_
    .private_segment_fixed_size: 0
    .sgpr_count:     20
    .sgpr_spill_count: 0
    .symbol:         _ZN7rocprim6detail19block_reduce_kernelILb1ELb0ELj4ENS0_21wrapped_reduce_configINS_14default_configEdEEdPdS5_dN6thrust4plusIdEEEEvT4_mT5_T6_T7_.kd
    .uniform_work_group_size: 1
    .uses_dynamic_stack: false
    .vgpr_count:     9
    .vgpr_spill_count: 0
    .wavefront_size: 64
  - .args:
      - .address_space:  global
        .offset:         0
        .size:           8
        .value_kind:     global_buffer
      - .offset:         8
        .size:           8
        .value_kind:     by_value
      - .address_space:  global
        .offset:         16
        .size:           8
        .value_kind:     global_buffer
      - .offset:         24
        .size:           8
        .value_kind:     by_value
      - .offset:         32
        .size:           1
        .value_kind:     by_value
    .group_segment_fixed_size: 32
    .kernarg_segment_align: 8
    .kernarg_segment_size: 36
    .language:       OpenCL C
    .language_version:
      - 2
      - 0
    .max_flat_workgroup_size: 128
    .name:           _ZN7rocprim6detail19block_reduce_kernelILb1ELb0ELj2ENS0_21wrapped_reduce_configINS_14default_configEdEEdPdS5_dN6thrust4plusIdEEEEvT4_mT5_T6_T7_
    .private_segment_fixed_size: 0
    .sgpr_count:     20
    .sgpr_spill_count: 0
    .symbol:         _ZN7rocprim6detail19block_reduce_kernelILb1ELb0ELj2ENS0_21wrapped_reduce_configINS_14default_configEdEEdPdS5_dN6thrust4plusIdEEEEvT4_mT5_T6_T7_.kd
    .uniform_work_group_size: 1
    .uses_dynamic_stack: false
    .vgpr_count:     9
    .vgpr_spill_count: 0
    .wavefront_size: 64
  - .args:
      - .address_space:  global
        .offset:         0
        .size:           8
        .value_kind:     global_buffer
      - .offset:         8
        .size:           8
        .value_kind:     by_value
      - .address_space:  global
        .offset:         16
        .size:           8
        .value_kind:     global_buffer
      - .offset:         24
        .size:           8
        .value_kind:     by_value
      - .offset:         32
        .size:           1
        .value_kind:     by_value
    .group_segment_fixed_size: 32
    .kernarg_segment_align: 8
    .kernarg_segment_size: 36
    .language:       OpenCL C
    .language_version:
      - 2
      - 0
    .max_flat_workgroup_size: 128
    .name:           _ZN7rocprim6detail19block_reduce_kernelILb1ELb0ELj1ENS0_21wrapped_reduce_configINS_14default_configEdEEdPdS5_dN6thrust4plusIdEEEEvT4_mT5_T6_T7_
    .private_segment_fixed_size: 0
    .sgpr_count:     20
    .sgpr_spill_count: 0
    .symbol:         _ZN7rocprim6detail19block_reduce_kernelILb1ELb0ELj1ENS0_21wrapped_reduce_configINS_14default_configEdEEdPdS5_dN6thrust4plusIdEEEEvT4_mT5_T6_T7_.kd
    .uniform_work_group_size: 1
    .uses_dynamic_stack: false
    .vgpr_count:     13
    .vgpr_spill_count: 0
    .wavefront_size: 64
  - .args:
      - .offset:         0
        .size:           16
        .value_kind:     by_value
      - .offset:         16
        .size:           8
        .value_kind:     by_value
      - .address_space:  global
        .offset:         24
        .size:           8
        .value_kind:     global_buffer
      - .offset:         32
        .size:           8
        .value_kind:     by_value
      - .offset:         40
        .size:           1
        .value_kind:     by_value
    .group_segment_fixed_size: 32
    .kernarg_segment_align: 8
    .kernarg_segment_size: 44
    .language:       OpenCL C
    .language_version:
      - 2
      - 0
    .max_flat_workgroup_size: 128
    .name:           _ZN7rocprim6detail19block_reduce_kernelILb0ELb1ELj1ENS0_21wrapped_reduce_configINS_14default_configEdEEdN6thrust11hip_rocprim26transform_input_iterator_tIdNS5_6detail15normal_iteratorINS5_10device_ptrIdEEEEZ4mainEUldE_EEPddNS5_4plusIdEEEEvT4_mT5_T6_T7_
    .private_segment_fixed_size: 0
    .sgpr_count:     20
    .sgpr_spill_count: 0
    .symbol:         _ZN7rocprim6detail19block_reduce_kernelILb0ELb1ELj1ENS0_21wrapped_reduce_configINS_14default_configEdEEdN6thrust11hip_rocprim26transform_input_iterator_tIdNS5_6detail15normal_iteratorINS5_10device_ptrIdEEEEZ4mainEUldE_EEPddNS5_4plusIdEEEEvT4_mT5_T6_T7_.kd
    .uniform_work_group_size: 1
    .uses_dynamic_stack: false
    .vgpr_count:     13
    .vgpr_spill_count: 0
    .wavefront_size: 64
  - .args:
      - .offset:         0
        .size:           16
        .value_kind:     by_value
      - .offset:         16
        .size:           8
        .value_kind:     by_value
      - .address_space:  global
        .offset:         24
        .size:           8
        .value_kind:     global_buffer
      - .offset:         32
        .size:           8
        .value_kind:     by_value
      - .offset:         40
        .size:           1
        .value_kind:     by_value
    .group_segment_fixed_size: 32
    .kernarg_segment_align: 8
    .kernarg_segment_size: 44
    .language:       OpenCL C
    .language_version:
      - 2
      - 0
    .max_flat_workgroup_size: 128
    .name:           _ZN7rocprim6detail19block_reduce_kernelILb1ELb1ELj2ENS0_21wrapped_reduce_configINS_14default_configEdEEdN6thrust11hip_rocprim26transform_input_iterator_tIdNS5_6detail15normal_iteratorINS5_10device_ptrIdEEEEZ4mainEUldE_EEPddNS5_4plusIdEEEEvT4_mT5_T6_T7_
    .private_segment_fixed_size: 0
    .sgpr_count:     29
    .sgpr_spill_count: 0
    .symbol:         _ZN7rocprim6detail19block_reduce_kernelILb1ELb1ELj2ENS0_21wrapped_reduce_configINS_14default_configEdEEdN6thrust11hip_rocprim26transform_input_iterator_tIdNS5_6detail15normal_iteratorINS5_10device_ptrIdEEEEZ4mainEUldE_EEPddNS5_4plusIdEEEEvT4_mT5_T6_T7_.kd
    .uniform_work_group_size: 1
    .uses_dynamic_stack: false
    .vgpr_count:     22
    .vgpr_spill_count: 0
    .wavefront_size: 64
  - .args:
      - .offset:         0
        .size:           16
        .value_kind:     by_value
      - .offset:         16
        .size:           8
        .value_kind:     by_value
      - .address_space:  global
        .offset:         24
        .size:           8
        .value_kind:     global_buffer
      - .offset:         32
        .size:           8
        .value_kind:     by_value
      - .offset:         40
        .size:           1
        .value_kind:     by_value
    .group_segment_fixed_size: 32
    .kernarg_segment_align: 8
    .kernarg_segment_size: 44
    .language:       OpenCL C
    .language_version:
      - 2
      - 0
    .max_flat_workgroup_size: 128
    .name:           _ZN7rocprim6detail19block_reduce_kernelILb1ELb1ELj4ENS0_21wrapped_reduce_configINS_14default_configEdEEdN6thrust11hip_rocprim26transform_input_iterator_tIdNS5_6detail15normal_iteratorINS5_10device_ptrIdEEEEZ4mainEUldE_EEPddNS5_4plusIdEEEEvT4_mT5_T6_T7_
    .private_segment_fixed_size: 0
    .sgpr_count:     46
    .sgpr_spill_count: 0
    .symbol:         _ZN7rocprim6detail19block_reduce_kernelILb1ELb1ELj4ENS0_21wrapped_reduce_configINS_14default_configEdEEdN6thrust11hip_rocprim26transform_input_iterator_tIdNS5_6detail15normal_iteratorINS5_10device_ptrIdEEEEZ4mainEUldE_EEPddNS5_4plusIdEEEEvT4_mT5_T6_T7_.kd
    .uniform_work_group_size: 1
    .uses_dynamic_stack: false
    .vgpr_count:     36
    .vgpr_spill_count: 0
    .wavefront_size: 64
  - .args:
      - .offset:         0
        .size:           16
        .value_kind:     by_value
      - .offset:         16
        .size:           8
        .value_kind:     by_value
      - .address_space:  global
        .offset:         24
        .size:           8
        .value_kind:     global_buffer
      - .offset:         32
        .size:           8
        .value_kind:     by_value
      - .offset:         40
        .size:           1
        .value_kind:     by_value
    .group_segment_fixed_size: 32
    .kernarg_segment_align: 8
    .kernarg_segment_size: 44
    .language:       OpenCL C
    .language_version:
      - 2
      - 0
    .max_flat_workgroup_size: 128
    .name:           _ZN7rocprim6detail19block_reduce_kernelILb1ELb1ELj8ENS0_21wrapped_reduce_configINS_14default_configEdEEdN6thrust11hip_rocprim26transform_input_iterator_tIdNS5_6detail15normal_iteratorINS5_10device_ptrIdEEEEZ4mainEUldE_EEPddNS5_4plusIdEEEEvT4_mT5_T6_T7_
    .private_segment_fixed_size: 0
    .sgpr_count:     78
    .sgpr_spill_count: 0
    .symbol:         _ZN7rocprim6detail19block_reduce_kernelILb1ELb1ELj8ENS0_21wrapped_reduce_configINS_14default_configEdEEdN6thrust11hip_rocprim26transform_input_iterator_tIdNS5_6detail15normal_iteratorINS5_10device_ptrIdEEEEZ4mainEUldE_EEPddNS5_4plusIdEEEEvT4_mT5_T6_T7_.kd
    .uniform_work_group_size: 1
    .uses_dynamic_stack: false
    .vgpr_count:     68
    .vgpr_spill_count: 0
    .wavefront_size: 64
  - .args:
      - .offset:         0
        .size:           16
        .value_kind:     by_value
      - .offset:         16
        .size:           8
        .value_kind:     by_value
      - .address_space:  global
        .offset:         24
        .size:           8
        .value_kind:     global_buffer
      - .offset:         32
        .size:           8
        .value_kind:     by_value
      - .offset:         40
        .size:           1
        .value_kind:     by_value
    .group_segment_fixed_size: 32
    .kernarg_segment_align: 8
    .kernarg_segment_size: 44
    .language:       OpenCL C
    .language_version:
      - 2
      - 0
    .max_flat_workgroup_size: 128
    .name:           _ZN7rocprim6detail19block_reduce_kernelILb1ELb1ELj16ENS0_21wrapped_reduce_configINS_14default_configEdEEdN6thrust11hip_rocprim26transform_input_iterator_tIdNS5_6detail15normal_iteratorINS5_10device_ptrIdEEEEZ4mainEUldE_EEPddNS5_4plusIdEEEEvT4_mT5_T6_T7_
    .private_segment_fixed_size: 0
    .sgpr_count:     100
    .sgpr_spill_count: 42
    .symbol:         _ZN7rocprim6detail19block_reduce_kernelILb1ELb1ELj16ENS0_21wrapped_reduce_configINS_14default_configEdEEdN6thrust11hip_rocprim26transform_input_iterator_tIdNS5_6detail15normal_iteratorINS5_10device_ptrIdEEEEZ4mainEUldE_EEPddNS5_4plusIdEEEEvT4_mT5_T6_T7_.kd
    .uniform_work_group_size: 1
    .uses_dynamic_stack: false
    .vgpr_count:     133
    .vgpr_spill_count: 0
    .wavefront_size: 64
  - .args:
      - .offset:         0
        .size:           16
        .value_kind:     by_value
      - .offset:         16
        .size:           8
        .value_kind:     by_value
      - .address_space:  global
        .offset:         24
        .size:           8
        .value_kind:     global_buffer
      - .offset:         32
        .size:           8
        .value_kind:     by_value
      - .offset:         40
        .size:           1
        .value_kind:     by_value
    .group_segment_fixed_size: 32
    .kernarg_segment_align: 8
    .kernarg_segment_size: 44
    .language:       OpenCL C
    .language_version:
      - 2
      - 0
    .max_flat_workgroup_size: 128
    .name:           _ZN7rocprim6detail19block_reduce_kernelILb1ELb0ELj16ENS0_21wrapped_reduce_configINS_14default_configEdEEdN6thrust11hip_rocprim26transform_input_iterator_tIdNS5_6detail15normal_iteratorINS5_10device_ptrIdEEEEZ4mainEUldE_EEPddNS5_4plusIdEEEEvT4_mT5_T6_T7_
    .private_segment_fixed_size: 0
    .sgpr_count:     19
    .sgpr_spill_count: 0
    .symbol:         _ZN7rocprim6detail19block_reduce_kernelILb1ELb0ELj16ENS0_21wrapped_reduce_configINS_14default_configEdEEdN6thrust11hip_rocprim26transform_input_iterator_tIdNS5_6detail15normal_iteratorINS5_10device_ptrIdEEEEZ4mainEUldE_EEPddNS5_4plusIdEEEEvT4_mT5_T6_T7_.kd
    .uniform_work_group_size: 1
    .uses_dynamic_stack: false
    .vgpr_count:     9
    .vgpr_spill_count: 0
    .wavefront_size: 64
  - .args:
      - .offset:         0
        .size:           16
        .value_kind:     by_value
      - .offset:         16
        .size:           8
        .value_kind:     by_value
      - .address_space:  global
        .offset:         24
        .size:           8
        .value_kind:     global_buffer
      - .offset:         32
        .size:           8
        .value_kind:     by_value
      - .offset:         40
        .size:           1
        .value_kind:     by_value
    .group_segment_fixed_size: 32
    .kernarg_segment_align: 8
    .kernarg_segment_size: 44
    .language:       OpenCL C
    .language_version:
      - 2
      - 0
    .max_flat_workgroup_size: 128
    .name:           _ZN7rocprim6detail19block_reduce_kernelILb1ELb0ELj8ENS0_21wrapped_reduce_configINS_14default_configEdEEdN6thrust11hip_rocprim26transform_input_iterator_tIdNS5_6detail15normal_iteratorINS5_10device_ptrIdEEEEZ4mainEUldE_EEPddNS5_4plusIdEEEEvT4_mT5_T6_T7_
    .private_segment_fixed_size: 0
    .sgpr_count:     19
    .sgpr_spill_count: 0
    .symbol:         _ZN7rocprim6detail19block_reduce_kernelILb1ELb0ELj8ENS0_21wrapped_reduce_configINS_14default_configEdEEdN6thrust11hip_rocprim26transform_input_iterator_tIdNS5_6detail15normal_iteratorINS5_10device_ptrIdEEEEZ4mainEUldE_EEPddNS5_4plusIdEEEEvT4_mT5_T6_T7_.kd
    .uniform_work_group_size: 1
    .uses_dynamic_stack: false
    .vgpr_count:     9
    .vgpr_spill_count: 0
    .wavefront_size: 64
  - .args:
      - .offset:         0
        .size:           16
        .value_kind:     by_value
      - .offset:         16
        .size:           8
        .value_kind:     by_value
      - .address_space:  global
        .offset:         24
        .size:           8
        .value_kind:     global_buffer
      - .offset:         32
        .size:           8
        .value_kind:     by_value
      - .offset:         40
        .size:           1
        .value_kind:     by_value
    .group_segment_fixed_size: 32
    .kernarg_segment_align: 8
    .kernarg_segment_size: 44
    .language:       OpenCL C
    .language_version:
      - 2
      - 0
    .max_flat_workgroup_size: 128
    .name:           _ZN7rocprim6detail19block_reduce_kernelILb1ELb0ELj4ENS0_21wrapped_reduce_configINS_14default_configEdEEdN6thrust11hip_rocprim26transform_input_iterator_tIdNS5_6detail15normal_iteratorINS5_10device_ptrIdEEEEZ4mainEUldE_EEPddNS5_4plusIdEEEEvT4_mT5_T6_T7_
    .private_segment_fixed_size: 0
    .sgpr_count:     19
    .sgpr_spill_count: 0
    .symbol:         _ZN7rocprim6detail19block_reduce_kernelILb1ELb0ELj4ENS0_21wrapped_reduce_configINS_14default_configEdEEdN6thrust11hip_rocprim26transform_input_iterator_tIdNS5_6detail15normal_iteratorINS5_10device_ptrIdEEEEZ4mainEUldE_EEPddNS5_4plusIdEEEEvT4_mT5_T6_T7_.kd
    .uniform_work_group_size: 1
    .uses_dynamic_stack: false
    .vgpr_count:     9
    .vgpr_spill_count: 0
    .wavefront_size: 64
  - .args:
      - .offset:         0
        .size:           16
        .value_kind:     by_value
      - .offset:         16
        .size:           8
        .value_kind:     by_value
      - .address_space:  global
        .offset:         24
        .size:           8
        .value_kind:     global_buffer
      - .offset:         32
        .size:           8
        .value_kind:     by_value
      - .offset:         40
        .size:           1
        .value_kind:     by_value
    .group_segment_fixed_size: 32
    .kernarg_segment_align: 8
    .kernarg_segment_size: 44
    .language:       OpenCL C
    .language_version:
      - 2
      - 0
    .max_flat_workgroup_size: 128
    .name:           _ZN7rocprim6detail19block_reduce_kernelILb1ELb0ELj2ENS0_21wrapped_reduce_configINS_14default_configEdEEdN6thrust11hip_rocprim26transform_input_iterator_tIdNS5_6detail15normal_iteratorINS5_10device_ptrIdEEEEZ4mainEUldE_EEPddNS5_4plusIdEEEEvT4_mT5_T6_T7_
    .private_segment_fixed_size: 0
    .sgpr_count:     20
    .sgpr_spill_count: 0
    .symbol:         _ZN7rocprim6detail19block_reduce_kernelILb1ELb0ELj2ENS0_21wrapped_reduce_configINS_14default_configEdEEdN6thrust11hip_rocprim26transform_input_iterator_tIdNS5_6detail15normal_iteratorINS5_10device_ptrIdEEEEZ4mainEUldE_EEPddNS5_4plusIdEEEEvT4_mT5_T6_T7_.kd
    .uniform_work_group_size: 1
    .uses_dynamic_stack: false
    .vgpr_count:     9
    .vgpr_spill_count: 0
    .wavefront_size: 64
  - .args:
      - .offset:         0
        .size:           16
        .value_kind:     by_value
      - .offset:         16
        .size:           8
        .value_kind:     by_value
      - .address_space:  global
        .offset:         24
        .size:           8
        .value_kind:     global_buffer
      - .offset:         32
        .size:           8
        .value_kind:     by_value
      - .offset:         40
        .size:           1
        .value_kind:     by_value
    .group_segment_fixed_size: 32
    .kernarg_segment_align: 8
    .kernarg_segment_size: 44
    .language:       OpenCL C
    .language_version:
      - 2
      - 0
    .max_flat_workgroup_size: 128
    .name:           _ZN7rocprim6detail19block_reduce_kernelILb1ELb0ELj1ENS0_21wrapped_reduce_configINS_14default_configEdEEdN6thrust11hip_rocprim26transform_input_iterator_tIdNS5_6detail15normal_iteratorINS5_10device_ptrIdEEEEZ4mainEUldE_EEPddNS5_4plusIdEEEEvT4_mT5_T6_T7_
    .private_segment_fixed_size: 0
    .sgpr_count:     20
    .sgpr_spill_count: 0
    .symbol:         _ZN7rocprim6detail19block_reduce_kernelILb1ELb0ELj1ENS0_21wrapped_reduce_configINS_14default_configEdEEdN6thrust11hip_rocprim26transform_input_iterator_tIdNS5_6detail15normal_iteratorINS5_10device_ptrIdEEEEZ4mainEUldE_EEPddNS5_4plusIdEEEEvT4_mT5_T6_T7_.kd
    .uniform_work_group_size: 1
    .uses_dynamic_stack: false
    .vgpr_count:     13
    .vgpr_spill_count: 0
    .wavefront_size: 64
amdhsa.target:   amdgcn-amd-amdhsa--gfx906
amdhsa.version:
  - 1
  - 2
...

	.end_amdgpu_metadata
